;; amdgpu-corpus repo=ROCm/rocFFT kind=compiled arch=gfx906 opt=O3
	.text
	.amdgcn_target "amdgcn-amd-amdhsa--gfx906"
	.amdhsa_code_object_version 6
	.protected	bluestein_single_fwd_len198_dim1_half_op_CI_CI ; -- Begin function bluestein_single_fwd_len198_dim1_half_op_CI_CI
	.globl	bluestein_single_fwd_len198_dim1_half_op_CI_CI
	.p2align	8
	.type	bluestein_single_fwd_len198_dim1_half_op_CI_CI,@function
bluestein_single_fwd_len198_dim1_half_op_CI_CI: ; @bluestein_single_fwd_len198_dim1_half_op_CI_CI
; %bb.0:
	v_mul_u32_u24_e32 v1, 0xba3, v0
	s_load_dwordx4 s[0:3], s[4:5], 0x28
	v_lshrrev_b32_e32 v1, 16, v1
	v_mad_u64_u32 v[8:9], s[6:7], s6, 5, v[1:2]
	v_mov_b32_e32 v9, 0
	s_waitcnt lgkmcnt(0)
	v_cmp_gt_u64_e32 vcc, s[0:1], v[8:9]
	s_and_saveexec_b64 s[0:1], vcc
	s_cbranch_execz .LBB0_23
; %bb.1:
	s_mov_b32 s0, 0xcccccccd
	v_mul_hi_u32 v2, v8, s0
	v_mul_lo_u16_e32 v1, 22, v1
	s_load_dwordx2 s[6:7], s[4:5], 0x0
	s_load_dwordx2 s[12:13], s[4:5], 0x38
	v_sub_u16_e32 v20, v0, v1
	v_lshrrev_b32_e32 v0, 2, v2
	v_lshl_add_u32 v0, v0, 2, v0
	v_sub_u32_e32 v0, v8, v0
	v_mul_u32_u24_e32 v15, 0xc6, v0
	v_cmp_gt_u16_e32 vcc, 18, v20
	v_lshlrev_b32_e32 v19, 2, v20
	v_lshlrev_b32_e32 v22, 2, v15
	s_and_saveexec_b64 s[14:15], vcc
	s_cbranch_execz .LBB0_3
; %bb.2:
	s_load_dwordx2 s[0:1], s[4:5], 0x18
	s_waitcnt lgkmcnt(0)
	s_load_dwordx4 s[8:11], s[0:1], 0x0
	s_waitcnt lgkmcnt(0)
	v_mad_u64_u32 v[0:1], s[0:1], s10, v8, 0
	v_mad_u64_u32 v[2:3], s[0:1], s8, v20, 0
	;; [unrolled: 1-line block ×4, first 2 shown]
	v_mov_b32_e32 v1, v4
	v_lshlrev_b64 v[0:1], 2, v[0:1]
	v_mov_b32_e32 v3, v5
	v_mov_b32_e32 v6, s3
	v_lshlrev_b64 v[2:3], 2, v[2:3]
	v_add_co_u32_e64 v0, s[0:1], s2, v0
	v_addc_co_u32_e64 v1, s[0:1], v6, v1, s[0:1]
	v_add_co_u32_e64 v0, s[0:1], v0, v2
	v_addc_co_u32_e64 v1, s[0:1], v1, v3, s[0:1]
	s_mul_i32 s0, s9, 0x48
	s_mul_hi_u32 s1, s8, 0x48
	s_mul_i32 s2, s8, 0x48
	s_add_i32 s3, s1, s0
	global_load_dword v2, v[0:1], off
	global_load_dword v3, v19, s[6:7]
	global_load_dword v4, v19, s[6:7] offset:72
	global_load_dword v5, v19, s[6:7] offset:144
	;; [unrolled: 1-line block ×3, first 2 shown]
	v_mov_b32_e32 v7, s3
	v_add_co_u32_e64 v0, s[0:1], s2, v0
	v_addc_co_u32_e64 v1, s[0:1], v1, v7, s[0:1]
	global_load_dword v7, v[0:1], off
	v_mov_b32_e32 v9, s3
	v_add_co_u32_e64 v0, s[0:1], s2, v0
	v_addc_co_u32_e64 v1, s[0:1], v1, v9, s[0:1]
	global_load_dword v9, v[0:1], off
	;; [unrolled: 4-line block ×4, first 2 shown]
	global_load_dword v12, v19, s[6:7] offset:288
	global_load_dword v13, v19, s[6:7] offset:360
	;; [unrolled: 1-line block ×4, first 2 shown]
	v_mov_b32_e32 v17, s3
	v_add_co_u32_e64 v0, s[0:1], s2, v0
	v_addc_co_u32_e64 v1, s[0:1], v1, v17, s[0:1]
	global_load_dword v17, v[0:1], off
	v_mov_b32_e32 v18, s3
	v_add_co_u32_e64 v0, s[0:1], s2, v0
	v_addc_co_u32_e64 v1, s[0:1], v1, v18, s[0:1]
	global_load_dword v18, v[0:1], off
	global_load_dword v21, v19, s[6:7] offset:576
	v_mov_b32_e32 v23, s3
	v_add_co_u32_e64 v0, s[0:1], s2, v0
	v_addc_co_u32_e64 v1, s[0:1], v1, v23, s[0:1]
	global_load_dword v23, v[0:1], off
	v_mov_b32_e32 v24, s3
	v_add_co_u32_e64 v0, s[0:1], s2, v0
	v_addc_co_u32_e64 v1, s[0:1], v1, v24, s[0:1]
	global_load_dword v24, v[0:1], off
	;; [unrolled: 4-line block ×3, first 2 shown]
	global_load_dword v27, v19, s[6:7] offset:648
	v_add_co_u32_e64 v0, s[0:1], s2, v0
	v_addc_co_u32_e64 v1, s[0:1], v1, v25, s[0:1]
	global_load_dword v25, v[0:1], off
	global_load_dword v28, v19, s[6:7] offset:720
	v_lshl_add_u32 v0, v20, 2, v22
	s_waitcnt vmcnt(21)
	v_lshrrev_b32_e32 v1, 16, v2
	s_waitcnt vmcnt(20)
	v_mul_f16_sdwa v29, v3, v2 dst_sel:DWORD dst_unused:UNUSED_PAD src0_sel:WORD_1 src1_sel:DWORD
	v_fma_f16 v29, v3, v1, -v29
	v_mul_f16_sdwa v1, v3, v1 dst_sel:DWORD dst_unused:UNUSED_PAD src0_sel:WORD_1 src1_sel:DWORD
	v_fma_f16 v1, v3, v2, v1
	v_pack_b32_f16 v1, v1, v29
	ds_write_b32 v0, v1
	v_add_u32_e32 v2, v22, v19
	s_waitcnt vmcnt(16)
	v_lshrrev_b32_e32 v0, 16, v7
	v_mul_f16_sdwa v1, v4, v0 dst_sel:DWORD dst_unused:UNUSED_PAD src0_sel:WORD_1 src1_sel:DWORD
	v_mul_f16_sdwa v3, v4, v7 dst_sel:DWORD dst_unused:UNUSED_PAD src0_sel:WORD_1 src1_sel:DWORD
	v_fma_f16 v1, v4, v7, v1
	v_fma_f16 v0, v4, v0, -v3
	v_pack_b32_f16 v0, v1, v0
	s_waitcnt vmcnt(15)
	v_lshrrev_b32_e32 v1, 16, v9
	v_mul_f16_sdwa v3, v5, v1 dst_sel:DWORD dst_unused:UNUSED_PAD src0_sel:WORD_1 src1_sel:DWORD
	v_mul_f16_sdwa v4, v5, v9 dst_sel:DWORD dst_unused:UNUSED_PAD src0_sel:WORD_1 src1_sel:DWORD
	v_fma_f16 v3, v5, v9, v3
	v_fma_f16 v1, v5, v1, -v4
	v_pack_b32_f16 v1, v3, v1
	ds_write2_b32 v2, v0, v1 offset0:18 offset1:36
	s_waitcnt vmcnt(14)
	v_lshrrev_b32_e32 v0, 16, v10
	v_mul_f16_sdwa v1, v6, v0 dst_sel:DWORD dst_unused:UNUSED_PAD src0_sel:WORD_1 src1_sel:DWORD
	v_mul_f16_sdwa v3, v6, v10 dst_sel:DWORD dst_unused:UNUSED_PAD src0_sel:WORD_1 src1_sel:DWORD
	v_fma_f16 v1, v6, v10, v1
	v_fma_f16 v0, v6, v0, -v3
	v_pack_b32_f16 v0, v1, v0
	s_waitcnt vmcnt(13)
	v_lshrrev_b32_e32 v1, 16, v11
	s_waitcnt vmcnt(12)
	v_mul_f16_sdwa v3, v12, v1 dst_sel:DWORD dst_unused:UNUSED_PAD src0_sel:WORD_1 src1_sel:DWORD
	v_mul_f16_sdwa v4, v12, v11 dst_sel:DWORD dst_unused:UNUSED_PAD src0_sel:WORD_1 src1_sel:DWORD
	v_fma_f16 v3, v12, v11, v3
	v_fma_f16 v1, v12, v1, -v4
	v_pack_b32_f16 v1, v3, v1
	ds_write2_b32 v2, v0, v1 offset0:54 offset1:72
	s_waitcnt vmcnt(8)
	v_lshrrev_b32_e32 v0, 16, v17
	v_mul_f16_sdwa v1, v13, v0 dst_sel:DWORD dst_unused:UNUSED_PAD src0_sel:WORD_1 src1_sel:DWORD
	v_mul_f16_sdwa v3, v13, v17 dst_sel:DWORD dst_unused:UNUSED_PAD src0_sel:WORD_1 src1_sel:DWORD
	v_fma_f16 v1, v13, v17, v1
	v_fma_f16 v0, v13, v0, -v3
	v_pack_b32_f16 v0, v1, v0
	s_waitcnt vmcnt(7)
	v_lshrrev_b32_e32 v1, 16, v18
	v_mul_f16_sdwa v3, v14, v1 dst_sel:DWORD dst_unused:UNUSED_PAD src0_sel:WORD_1 src1_sel:DWORD
	v_mul_f16_sdwa v4, v14, v18 dst_sel:DWORD dst_unused:UNUSED_PAD src0_sel:WORD_1 src1_sel:DWORD
	v_fma_f16 v3, v14, v18, v3
	v_fma_f16 v1, v14, v1, -v4
	v_pack_b32_f16 v1, v3, v1
	ds_write2_b32 v2, v0, v1 offset0:90 offset1:108
	s_waitcnt vmcnt(5)
	v_lshrrev_b32_e32 v0, 16, v23
	v_mul_f16_sdwa v1, v16, v0 dst_sel:DWORD dst_unused:UNUSED_PAD src0_sel:WORD_1 src1_sel:DWORD
	v_mul_f16_sdwa v3, v16, v23 dst_sel:DWORD dst_unused:UNUSED_PAD src0_sel:WORD_1 src1_sel:DWORD
	v_fma_f16 v1, v16, v23, v1
	v_fma_f16 v0, v16, v0, -v3
	v_pack_b32_f16 v0, v1, v0
	s_waitcnt vmcnt(4)
	v_lshrrev_b32_e32 v1, 16, v24
	v_mul_f16_sdwa v3, v21, v1 dst_sel:DWORD dst_unused:UNUSED_PAD src0_sel:WORD_1 src1_sel:DWORD
	v_mul_f16_sdwa v4, v21, v24 dst_sel:DWORD dst_unused:UNUSED_PAD src0_sel:WORD_1 src1_sel:DWORD
	v_fma_f16 v3, v21, v24, v3
	v_fma_f16 v1, v21, v1, -v4
	v_pack_b32_f16 v1, v3, v1
	ds_write2_b32 v2, v0, v1 offset0:126 offset1:144
	s_waitcnt vmcnt(3)
	v_lshrrev_b32_e32 v0, 16, v26
	s_waitcnt vmcnt(2)
	v_mul_f16_sdwa v1, v27, v0 dst_sel:DWORD dst_unused:UNUSED_PAD src0_sel:WORD_1 src1_sel:DWORD
	v_mul_f16_sdwa v3, v27, v26 dst_sel:DWORD dst_unused:UNUSED_PAD src0_sel:WORD_1 src1_sel:DWORD
	v_fma_f16 v1, v27, v26, v1
	v_fma_f16 v0, v27, v0, -v3
	v_pack_b32_f16 v0, v1, v0
	s_waitcnt vmcnt(1)
	v_lshrrev_b32_e32 v1, 16, v25
	s_waitcnt vmcnt(0)
	v_mul_f16_sdwa v3, v28, v1 dst_sel:DWORD dst_unused:UNUSED_PAD src0_sel:WORD_1 src1_sel:DWORD
	v_mul_f16_sdwa v4, v28, v25 dst_sel:DWORD dst_unused:UNUSED_PAD src0_sel:WORD_1 src1_sel:DWORD
	v_fma_f16 v3, v28, v25, v3
	v_fma_f16 v1, v28, v1, -v4
	v_pack_b32_f16 v1, v3, v1
	ds_write2_b32 v2, v0, v1 offset0:162 offset1:180
.LBB0_3:
	s_or_b64 exec, exec, s[14:15]
	v_mov_b32_e32 v2, 0
	s_waitcnt lgkmcnt(0)
	s_barrier
	s_waitcnt lgkmcnt(0)
                                        ; implicit-def: $vgpr21
                                        ; implicit-def: $vgpr5
                                        ; implicit-def: $vgpr7
                                        ; implicit-def: $vgpr12
                                        ; implicit-def: $vgpr14
	s_and_saveexec_b64 s[0:1], vcc
	s_cbranch_execz .LBB0_5
; %bb.4:
	v_lshl_add_u32 v0, v15, 2, v19
	ds_read2_b32 v[2:3], v0 offset1:18
	ds_read2_b32 v[13:14], v0 offset0:36 offset1:54
	ds_read2_b32 v[11:12], v0 offset0:72 offset1:90
	;; [unrolled: 1-line block ×4, first 2 shown]
	ds_read_b32 v21, v0 offset:720
.LBB0_5:
	s_or_b64 exec, exec, s[0:1]
	s_waitcnt lgkmcnt(0)
	v_pk_add_f16 v18, v3, v21 neg_lo:[0,1] neg_hi:[0,1]
	s_mov_b32 s10, 0xb853
	v_pk_add_f16 v17, v21, v3
	s_movk_i32 s2, 0x3abb
	v_mul_f16_sdwa v31, v18, s10 dst_sel:DWORD dst_unused:UNUSED_PAD src0_sel:WORD_1 src1_sel:DWORD
	s_mov_b32 s0, 0xbb47
	v_pk_add_f16 v26, v13, v5 neg_lo:[0,1] neg_hi:[0,1]
	v_fma_f16 v0, v17, s2, v31
	v_lshrrev_b32_e32 v39, 16, v17
	s_movk_i32 s3, 0x36a6
	v_mul_f16_e32 v33, 0xbb47, v18
	s_mov_b32 s17, 0xbbeb
	v_pk_add_f16 v24, v5, v13
	v_mul_f16_sdwa v32, v26, s0 dst_sel:DWORD dst_unused:UNUSED_PAD src0_sel:WORD_1 src1_sel:DWORD
	v_add_f16_e32 v0, v0, v2
	v_fma_f16 v1, v39, s3, -v33
	s_mov_b32 s11, 0xb08e
	v_mul_f16_sdwa v34, v18, s17 dst_sel:DWORD dst_unused:UNUSED_PAD src0_sel:WORD_1 src1_sel:DWORD
	v_fma_f16 v10, v24, s3, v32
	v_lshrrev_b32_e32 v45, 16, v24
	s_mov_b32 s18, 0xb93d
	v_mul_f16_e32 v36, 0xba0c, v26
	s_movk_i32 s0, 0x3482
	v_add_f16_sdwa v1, v1, v2 dst_sel:DWORD dst_unused:UNUSED_PAD src0_sel:DWORD src1_sel:WORD_1
	v_fma_f16 v9, v17, s11, v34
	v_add_f16_e32 v0, v10, v0
	v_fma_f16 v10, v45, s18, -v36
	s_mov_b32 s16, 0xbbad
	v_mul_f16_sdwa v40, v26, s0 dst_sel:DWORD dst_unused:UNUSED_PAD src0_sel:WORD_1 src1_sel:DWORD
	v_add_f16_e32 v9, v9, v2
	v_add_f16_e32 v1, v10, v1
	v_fma_f16 v10, v24, s16, v40
	v_mul_f16_e32 v44, 0xbbeb, v18
	v_add_f16_e32 v9, v10, v9
	v_fma_f16 v10, v39, s11, -v44
	v_mul_f16_e32 v43, 0x3482, v26
	v_pk_add_f16 v28, v14, v4 neg_lo:[0,1] neg_hi:[0,1]
	v_add_f16_sdwa v10, v10, v2 dst_sel:DWORD dst_unused:UNUSED_PAD src0_sel:DWORD src1_sel:WORD_1
	v_fma_f16 v16, v45, s16, -v43
	v_pk_add_f16 v27, v4, v14
	v_mul_f16_sdwa v37, v28, s17 dst_sel:DWORD dst_unused:UNUSED_PAD src0_sel:WORD_1 src1_sel:DWORD
	v_add_f16_e32 v10, v16, v10
	v_fma_f16 v16, v27, s11, v37
	v_lshrrev_b32_e32 v49, 16, v27
	v_mul_f16_e32 v42, 0x3482, v28
	s_movk_i32 s19, 0x3b47
	v_add_f16_e32 v0, v16, v0
	v_fma_f16 v16, v49, s16, -v42
	v_mul_f16_sdwa v46, v28, s19 dst_sel:DWORD dst_unused:UNUSED_PAD src0_sel:WORD_1 src1_sel:DWORD
	v_add_f16_e32 v1, v16, v1
	v_fma_f16 v16, v27, s3, v46
	v_mul_f16_e32 v48, 0x3b47, v28
	s_mov_b32 s20, 0xba0c
	v_pk_add_f16 v30, v11, v7 neg_lo:[0,1] neg_hi:[0,1]
	v_add_f16_e32 v9, v16, v9
	v_fma_f16 v16, v49, s3, -v48
	v_pk_add_f16 v29, v7, v11
	v_mul_f16_sdwa v41, v30, s20 dst_sel:DWORD dst_unused:UNUSED_PAD src0_sel:WORD_1 src1_sel:DWORD
	v_add_f16_e32 v10, v16, v10
	v_fma_f16 v16, v29, s18, v41
	v_lshrrev_b32_e32 v54, 16, v29
	v_mul_f16_e32 v47, 0x3beb, v30
	v_add_f16_e32 v23, v16, v0
	v_fma_f16 v0, v54, s11, -v47
	v_mul_f16_sdwa v50, v30, s10 dst_sel:DWORD dst_unused:UNUSED_PAD src0_sel:WORD_1 src1_sel:DWORD
	v_pk_add_f16 v38, v12, v6 neg_lo:[0,1] neg_hi:[0,1]
	v_add_f16_e32 v16, v0, v1
	v_fma_f16 v0, v29, s2, v50
	v_pk_add_f16 v35, v6, v12
	v_mul_f16_sdwa v60, v38, s20 dst_sel:DWORD dst_unused:UNUSED_PAD src0_sel:WORD_1 src1_sel:DWORD
	v_add_f16_e32 v0, v0, v9
	v_mul_f16_e32 v53, 0xb853, v30
	s_mov_b32 s8, 0x36a6b93d
	s_mov_b32 s9, 0xb08ebbad
	;; [unrolled: 1-line block ×4, first 2 shown]
	v_fma_f16 v9, v35, s18, v60
	v_lshrrev_b32_e32 v67, 16, v35
	v_mul_f16_e32 v59, 0x3853, v38
	v_fma_f16 v1, v54, s2, -v53
	s_mov_b32 s0, 0x3abb36a6
	s_mov_b32 s21, 0xba0cbb47
	v_pk_mul_f16 v58, v24, s8
	v_pk_mul_f16 v63, v27, s9
	;; [unrolled: 1-line block ×3, first 2 shown]
	v_add_f16_e32 v0, v9, v0
	v_pk_mul_f16 v65, v35, s15
	v_fma_f16 v9, v67, s2, -v59
	v_mul_f16_e32 v66, 0xba0c, v38
	s_load_dwordx2 s[8:9], s[4:5], 0x20
	s_load_dwordx2 s[14:15], s[4:5], 0x8
	s_mov_b32 s4, 0xb482
	v_add_f16_e32 v10, v1, v10
	s_mov_b32 s1, 0xbb47b853
	v_pk_mul_f16 v25, v17, s0
	v_pk_fma_f16 v52, v26, s21, v58 op_sel:[0,0,1] op_sel_hi:[1,1,0]
	v_add_f16_e32 v9, v9, v16
	v_fma_f16 v16, v67, s18, -v66
	v_pk_fma_f16 v62, v26, s21, v58 op_sel:[0,0,1] op_sel_hi:[1,1,0] neg_lo:[1,0,0] neg_hi:[1,0,0]
	v_mul_f16_sdwa v58, v38, s4 dst_sel:DWORD dst_unused:UNUSED_PAD src0_sel:WORD_1 src1_sel:DWORD
	v_pk_fma_f16 v51, v18, s1, v25 op_sel:[0,0,1] op_sel_hi:[1,1,0]
	v_add_f16_e32 v16, v16, v10
	v_pk_fma_f16 v61, v18, s1, v25 op_sel:[0,0,1] op_sel_hi:[1,1,0] neg_lo:[1,0,0] neg_hi:[1,0,0]
	v_fma_f16 v10, v35, s16, v58
	s_mov_b32 s22, 0x3482bbeb
	v_add_f16_sdwa v1, v51, v2 dst_sel:DWORD dst_unused:UNUSED_PAD src0_sel:WORD_1 src1_sel:DWORD
	v_add_f16_e32 v10, v10, v23
	v_add_f16_sdwa v23, v61, v2 dst_sel:DWORD dst_unused:UNUSED_PAD src0_sel:DWORD src1_sel:WORD_1
	s_mov_b32 s23, 0x3bebba0c
	v_add_f16_sdwa v1, v52, v1 dst_sel:DWORD dst_unused:UNUSED_PAD src0_sel:WORD_1 src1_sel:DWORD
	v_pk_fma_f16 v55, v28, s22, v63 op_sel:[0,0,1] op_sel_hi:[1,1,0]
	v_pk_fma_f16 v63, v28, s22, v63 op_sel:[0,0,1] op_sel_hi:[1,1,0] neg_lo:[1,0,0] neg_hi:[1,0,0]
	v_add_f16_e32 v23, v62, v23
	s_mov_b32 s24, 0x3853b482
	v_add_f16_sdwa v1, v55, v1 dst_sel:DWORD dst_unused:UNUSED_PAD src0_sel:WORD_1 src1_sel:DWORD
	v_pk_fma_f16 v56, v30, s23, v64 op_sel:[0,0,1] op_sel_hi:[1,1,0]
	v_pk_fma_f16 v64, v30, s23, v64 op_sel:[0,0,1] op_sel_hi:[1,1,0] neg_lo:[1,0,0] neg_hi:[1,0,0]
	v_add_f16_e32 v23, v63, v23
	v_add_f16_sdwa v1, v56, v1 dst_sel:DWORD dst_unused:UNUSED_PAD src0_sel:WORD_1 src1_sel:DWORD
	v_pk_fma_f16 v57, v38, s24, v65 op_sel:[0,0,1] op_sel_hi:[1,1,0]
	v_pk_fma_f16 v65, v38, s24, v65 op_sel:[0,0,1] op_sel_hi:[1,1,0] neg_lo:[1,0,0] neg_hi:[1,0,0]
	v_add_f16_e32 v23, v64, v23
	v_add_f16_sdwa v1, v57, v1 dst_sel:DWORD dst_unused:UNUSED_PAD src0_sel:WORD_1 src1_sel:DWORD
	s_movk_i32 s5, 0x3beb
	v_add_f16_e32 v25, v65, v23
	s_movk_i32 s21, 0x3853
	v_mul_lo_u16_e32 v23, 11, v20
	s_waitcnt lgkmcnt(0)
	s_barrier
	s_and_saveexec_b64 s[0:1], vcc
	s_cbranch_execz .LBB0_7
; %bb.6:
	v_pk_add_f16 v3, v3, v2
	v_pk_add_f16 v3, v13, v3
	;; [unrolled: 1-line block ×3, first 2 shown]
	v_mul_f16_e32 v68, 0x3abb, v17
	v_mul_f16_e32 v70, 0x36a6, v39
	v_pk_add_f16 v3, v11, v3
	v_mul_f16_e32 v71, 0xb08e, v17
	v_mul_f16_e32 v72, 0x36a6, v24
	;; [unrolled: 1-line block ×3, first 2 shown]
	v_add_f16_e32 v33, v33, v70
	v_sub_f16_e32 v31, v68, v31
	v_pk_add_f16 v3, v12, v3
	v_mul_f16_e32 v74, 0xbbad, v24
	v_mul_f16_e32 v75, 0xb08e, v27
	;; [unrolled: 1-line block ×3, first 2 shown]
	v_sub_f16_e32 v34, v71, v34
	v_add_f16_sdwa v33, v33, v2 dst_sel:DWORD dst_unused:UNUSED_PAD src0_sel:DWORD src1_sel:WORD_1
	v_add_f16_e32 v36, v36, v73
	v_add_f16_e32 v31, v31, v2
	v_sub_f16_e32 v32, v72, v32
	v_pk_add_f16 v3, v6, v3
	v_mul_f16_e32 v39, 0xb08e, v39
	v_mul_f16_e32 v77, 0x36a6, v27
	;; [unrolled: 1-line block ×4, first 2 shown]
	v_add_f16_e32 v34, v34, v2
	v_sub_f16_e32 v40, v74, v40
	v_add_f16_e32 v33, v36, v33
	v_add_f16_e32 v36, v42, v76
	;; [unrolled: 1-line block ×3, first 2 shown]
	v_sub_f16_e32 v32, v75, v37
	v_pk_add_f16 v3, v7, v3
	v_mul_f16_e32 v45, 0xbbad, v45
	v_mul_f16_e32 v80, 0x3abb, v29
	;; [unrolled: 1-line block ×4, first 2 shown]
	v_add_f16_e32 v39, v44, v39
	v_add_f16_e32 v34, v40, v34
	v_sub_f16_e32 v40, v77, v46
	v_add_f16_e32 v33, v36, v33
	v_add_f16_e32 v36, v47, v79
	;; [unrolled: 1-line block ×3, first 2 shown]
	v_sub_f16_e32 v32, v78, v41
	v_pk_add_f16 v3, v4, v3
	v_mul_f16_e32 v49, 0x36a6, v49
	v_mul_f16_e32 v44, 0xb93d, v35
	v_add_f16_sdwa v39, v39, v2 dst_sel:DWORD dst_unused:UNUSED_PAD src0_sel:DWORD src1_sel:WORD_1
	v_add_f16_e32 v43, v43, v45
	v_add_f16_e32 v34, v40, v34
	v_sub_f16_e32 v40, v80, v50
	v_add_f16_e32 v33, v36, v33
	v_add_f16_e32 v36, v59, v82
	s_mov_b32 s22, 0xffff
	v_add_f16_e32 v31, v32, v31
	v_sub_f16_e32 v32, v81, v58
	v_pk_add_f16 v3, v5, v3
	v_mul_f16_e32 v54, 0x3abb, v54
	v_add_f16_e32 v39, v43, v39
	v_add_f16_e32 v43, v48, v49
	;; [unrolled: 1-line block ×3, first 2 shown]
	v_sub_f16_e32 v40, v44, v60
	v_add_f16_e32 v33, v36, v33
	v_bfi_b32 v36, s22, v51, v61
	v_add_f16_e32 v31, v32, v31
	v_add_lshl_u32 v32, v15, v23, 2
	v_pk_add_f16 v3, v21, v3
	v_mul_f16_e32 v67, 0xb93d, v67
	v_add_f16_e32 v39, v43, v39
	v_add_f16_e32 v43, v53, v54
	;; [unrolled: 1-line block ×3, first 2 shown]
	v_bfi_b32 v40, s22, v52, v62
	ds_write_b32 v32, v3
	v_pk_add_f16 v3, v36, v2 op_sel:[0,1] op_sel_hi:[1,0]
	v_add_f16_e32 v39, v43, v39
	v_add_f16_e32 v43, v66, v67
	v_bfi_b32 v42, s22, v55, v63
	v_pk_add_f16 v3, v40, v3
	v_add_f16_e32 v39, v43, v39
	v_bfi_b32 v43, s22, v56, v64
	v_pk_add_f16 v3, v42, v3
	v_bfi_b32 v44, s22, v57, v65
	v_pk_add_f16 v3, v43, v3
	v_pk_add_f16 v3, v44, v3
	v_alignbit_b32 v4, v33, v3, 16
	v_pack_b32_f16 v3, v31, v3
	ds_write2_b32 v32, v3, v4 offset0:1 offset1:2
	v_pk_mul_f16 v3, v17, s16 op_sel_hi:[1,0]
	v_pk_fma_f16 v4, v18, s4, v3 op_sel:[0,0,1] op_sel_hi:[1,0,0] neg_lo:[1,0,0] neg_hi:[1,0,0]
	v_pk_mul_f16 v6, v24, s2 op_sel_hi:[1,0]
	v_pk_fma_f16 v3, v18, s4, v3 op_sel:[0,0,1] op_sel_hi:[1,0,0]
	v_pk_fma_f16 v7, v26, s21, v6 op_sel:[0,0,1] op_sel_hi:[1,0,0] neg_lo:[1,0,0] neg_hi:[1,0,0]
	v_pk_mul_f16 v11, v27, s18 op_sel_hi:[1,0]
	v_pk_add_f16 v3, v3, v2 op_sel:[0,1] op_sel_hi:[1,0]
	v_pk_fma_f16 v6, v26, s21, v6 op_sel:[0,0,1] op_sel_hi:[1,0,0]
	v_pk_mul_f16 v13, v29, s3 op_sel_hi:[1,0]
	v_pk_add_f16 v3, v6, v3
	v_pk_fma_f16 v6, v28, s20, v11 op_sel:[0,0,1] op_sel_hi:[1,0,0]
	v_alignbit_b32 v69, s0, v2, 16
	v_pk_mul_f16 v21, v35, s11 op_sel_hi:[1,0]
	v_pk_add_f16 v3, v6, v3
	v_pk_fma_f16 v6, v30, s19, v13 op_sel:[0,0,1] op_sel_hi:[1,0,0]
	v_pk_add_f16 v5, v4, v69
	v_pk_add_f16 v3, v6, v3
	v_pk_fma_f16 v6, v38, s17, v21 op_sel:[0,0,1] op_sel_hi:[1,0,0]
	v_alignbit_b32 v4, s0, v4, 16
	v_pk_fma_f16 v12, v28, s20, v11 op_sel:[0,0,1] op_sel_hi:[1,0,0] neg_lo:[1,0,0] neg_hi:[1,0,0]
	v_pk_add_f16 v3, v6, v3
	v_pk_add_f16 v4, v4, v2
	v_alignbit_b32 v6, s0, v7, 16
	v_pk_fma_f16 v14, v30, s19, v13 op_sel:[0,0,1] op_sel_hi:[1,0,0] neg_lo:[1,0,0] neg_hi:[1,0,0]
	v_pk_add_f16 v4, v6, v4
	v_alignbit_b32 v6, s0, v12, 16
	v_pk_fma_f16 v31, v38, s17, v21 op_sel:[0,0,1] op_sel_hi:[1,0,0] neg_lo:[1,0,0] neg_hi:[1,0,0]
	v_pk_add_f16 v4, v6, v4
	v_alignbit_b32 v6, s0, v14, 16
	v_pk_add_f16 v4, v6, v4
	v_alignbit_b32 v6, s0, v31, 16
	v_pk_add_f16 v5, v7, v5
	v_pk_add_f16 v4, v6, v4
	v_pk_mul_f16 v6, v18, s20 op_sel_hi:[1,0]
	v_pk_add_f16 v5, v12, v5
	v_pk_fma_f16 v7, v17, s18, v6 op_sel:[0,0,1] op_sel_hi:[1,0,0]
	v_pk_fma_f16 v6, v17, s18, v6 op_sel:[0,0,1] op_sel_hi:[1,0,0] neg_lo:[0,0,1] neg_hi:[0,0,1]
	v_pk_mul_f16 v12, v26, s5 op_sel_hi:[1,0]
	v_bfi_b32 v11, s22, v7, v6
	v_pk_fma_f16 v13, v24, s11, v12 op_sel:[0,0,1] op_sel_hi:[1,0,0]
	v_pk_fma_f16 v12, v24, s11, v12 op_sel:[0,0,1] op_sel_hi:[1,0,0] neg_lo:[0,0,1] neg_hi:[0,0,1]
	v_pk_add_f16 v5, v14, v5
	v_pk_add_f16 v11, v11, v2
	v_bfi_b32 v14, s22, v13, v12
	v_pk_add_f16 v11, v14, v11
	v_pk_mul_f16 v14, v28, s10 op_sel_hi:[1,0]
	v_pk_fma_f16 v17, v27, s2, v14 op_sel:[0,0,1] op_sel_hi:[1,0,0]
	v_pk_fma_f16 v14, v27, s2, v14 op_sel:[0,0,1] op_sel_hi:[1,0,0] neg_lo:[0,0,1] neg_hi:[0,0,1]
	v_bfi_b32 v18, s22, v17, v14
	v_pk_add_f16 v11, v18, v11
	v_pk_mul_f16 v18, v30, s4 op_sel_hi:[1,0]
	v_lshrrev_b32_e32 v7, 16, v7
	v_pk_fma_f16 v21, v29, s16, v18 op_sel:[0,0,1] op_sel_hi:[1,0,0]
	v_pk_fma_f16 v18, v29, s16, v18 op_sel:[0,0,1] op_sel_hi:[1,0,0] neg_lo:[0,0,1] neg_hi:[0,0,1]
	v_add_f16_sdwa v7, v7, v2 dst_sel:DWORD dst_unused:UNUSED_PAD src0_sel:DWORD src1_sel:WORD_1
	v_add_f16_e32 v2, v6, v2
	v_bfi_b32 v24, s22, v21, v18
	v_add_f16_sdwa v7, v13, v7 dst_sel:DWORD dst_unused:UNUSED_PAD src0_sel:WORD_1 src1_sel:DWORD
	v_add_f16_e32 v2, v12, v2
	v_pk_add_f16 v11, v24, v11
	v_pk_mul_f16 v24, v38, s19 op_sel_hi:[1,0]
	v_add_f16_sdwa v7, v17, v7 dst_sel:DWORD dst_unused:UNUSED_PAD src0_sel:WORD_1 src1_sel:DWORD
	v_add_f16_e32 v2, v14, v2
	v_pk_fma_f16 v26, v35, s3, v24 op_sel:[0,0,1] op_sel_hi:[1,0,0]
	v_pk_fma_f16 v24, v35, s3, v24 op_sel:[0,0,1] op_sel_hi:[1,0,0] neg_lo:[0,0,1] neg_hi:[0,0,1]
	v_add_f16_sdwa v7, v21, v7 dst_sel:DWORD dst_unused:UNUSED_PAD src0_sel:WORD_1 src1_sel:DWORD
	v_add_f16_e32 v2, v18, v2
	v_add_f16_sdwa v7, v26, v7 dst_sel:DWORD dst_unused:UNUSED_PAD src0_sel:WORD_1 src1_sel:DWORD
	v_add_f16_e32 v2, v24, v2
	v_pk_add_f16 v5, v31, v5
	v_pack_b32_f16 v6, v34, v39
	v_pack_b32_f16 v2, v2, v7
	v_bfi_b32 v27, s22, v26, v24
	ds_write2_b32 v32, v6, v2 offset0:3 offset1:4
	v_alignbit_b32 v2, v5, v3, 16
	v_pack_b32_f16 v3, v4, v3
	s_mov_b32 s2, 0x5040100
	v_pk_add_f16 v11, v27, v11
	ds_write2_b32 v32, v3, v2 offset0:5 offset1:6
	v_perm_b32 v2, v16, v0, s2
	ds_write2_b32 v32, v11, v2 offset0:7 offset1:8
	v_perm_b32 v2, v25, v10, s2
	v_perm_b32 v3, v9, v1, s2
	ds_write2_b32 v32, v3, v2 offset0:9 offset1:10
.LBB0_7:
	s_or_b64 exec, exec, s[0:1]
	v_add_lshl_u32 v24, v15, v20, 2
	s_waitcnt lgkmcnt(0)
	s_barrier
	ds_read2_b32 v[4:5], v24 offset1:22
	ds_read2_b32 v[6:7], v24 offset0:99 offset1:121
	ds_read2_b32 v[2:3], v24 offset0:44 offset1:66
	;; [unrolled: 1-line block ×3, first 2 shown]
	v_cmp_gt_u16_e64 s[0:1], 11, v20
	s_and_saveexec_b64 s[2:3], s[0:1]
	s_cbranch_execz .LBB0_9
; %bb.8:
	ds_read2_b32 v[0:1], v24 offset0:88 offset1:187
	s_waitcnt lgkmcnt(0)
	v_lshrrev_b32_e32 v16, 16, v0
	v_lshrrev_b32_e32 v9, 16, v1
.LBB0_9:
	s_or_b64 exec, exec, s[2:3]
	v_add_co_u32_e64 v13, s[2:3], -11, v20
	v_addc_co_u32_e64 v14, s[2:3], 0, -1, s[2:3]
	v_cndmask_b32_e64 v18, v14, 0, s[0:1]
	v_cndmask_b32_e64 v17, v13, v20, s[0:1]
	v_lshlrev_b64 v[13:14], 2, v[17:18]
	v_mov_b32_e32 v18, s15
	v_add_co_u32_e64 v13, s[2:3], s14, v13
	v_addc_co_u32_e64 v14, s[2:3], v18, v14, s[2:3]
	s_movk_i32 s2, 0x75
	v_add_u16_e32 v28, 44, v20
	v_mul_lo_u16_sdwa v29, v28, s2 dst_sel:DWORD dst_unused:UNUSED_PAD src0_sel:BYTE_0 src1_sel:DWORD
	v_sub_u16_sdwa v30, v28, v29 dst_sel:DWORD dst_unused:UNUSED_PAD src0_sel:DWORD src1_sel:BYTE_1
	v_lshrrev_b16_e32 v30, 1, v30
	v_and_b32_e32 v30, 0x7f, v30
	v_add_u16_sdwa v29, v30, v29 dst_sel:DWORD dst_unused:UNUSED_PAD src0_sel:DWORD src1_sel:BYTE_1
	v_add_u16_e32 v18, 22, v20
	v_lshrrev_b16_e32 v34, 3, v29
	v_add_u16_e32 v30, 0x42, v20
	v_mul_lo_u16_sdwa v21, v18, s2 dst_sel:DWORD dst_unused:UNUSED_PAD src0_sel:BYTE_0 src1_sel:DWORD
	v_mul_lo_u16_e32 v29, 11, v34
	v_mul_lo_u16_sdwa v31, v30, s2 dst_sel:DWORD dst_unused:UNUSED_PAD src0_sel:BYTE_0 src1_sel:DWORD
	v_sub_u16_sdwa v26, v18, v21 dst_sel:DWORD dst_unused:UNUSED_PAD src0_sel:DWORD src1_sel:BYTE_1
	v_sub_u16_e32 v35, v28, v29
	v_sub_u16_sdwa v28, v30, v31 dst_sel:DWORD dst_unused:UNUSED_PAD src0_sel:DWORD src1_sel:BYTE_1
	v_lshrrev_b16_e32 v26, 1, v26
	v_lshrrev_b16_e32 v28, 1, v28
	v_and_b32_e32 v26, 0x7f, v26
	v_and_b32_e32 v32, 0x7f, v28
	v_add_u16_sdwa v21, v26, v21 dst_sel:DWORD dst_unused:UNUSED_PAD src0_sel:DWORD src1_sel:BYTE_1
	global_load_dword v28, v[13:14], off
	v_add_u16_sdwa v13, v32, v31 dst_sel:DWORD dst_unused:UNUSED_PAD src0_sel:DWORD src1_sel:BYTE_1
	v_lshrrev_b16_e32 v21, 3, v21
	v_lshrrev_b16_e32 v14, 3, v13
	v_mul_lo_u16_e32 v26, 11, v21
	v_mul_lo_u16_e32 v13, 11, v14
	v_sub_u16_e32 v18, v18, v26
	v_mov_b32_e32 v26, 2
	v_sub_u16_e32 v37, v30, v13
	v_lshlrev_b32_sdwa v27, v26, v18 dst_sel:DWORD dst_unused:UNUSED_PAD src0_sel:DWORD src1_sel:BYTE_0
	v_lshlrev_b32_sdwa v29, v26, v35 dst_sel:DWORD dst_unused:UNUSED_PAD src0_sel:DWORD src1_sel:BYTE_0
	v_lshlrev_b32_sdwa v13, v26, v37 dst_sel:DWORD dst_unused:UNUSED_PAD src0_sel:DWORD src1_sel:BYTE_0
	v_add_u16_e32 v26, 0x58, v20
	v_mul_lo_u16_sdwa v32, v26, s2 dst_sel:DWORD dst_unused:UNUSED_PAD src0_sel:BYTE_0 src1_sel:DWORD
	global_load_dword v31, v27, s[14:15]
	global_load_dword v30, v29, s[14:15]
	s_waitcnt lgkmcnt(2)
	v_lshrrev_b32_e32 v33, 16, v6
	global_load_dword v29, v13, s[14:15]
	v_sub_u16_sdwa v27, v26, v32 dst_sel:DWORD dst_unused:UNUSED_PAD src0_sel:DWORD src1_sel:BYTE_1
	v_lshrrev_b16_e32 v27, 1, v27
	v_and_b32_e32 v13, 0x7f, v27
	v_add_u16_sdwa v13, v13, v32 dst_sel:DWORD dst_unused:UNUSED_PAD src0_sel:DWORD src1_sel:BYTE_1
	v_lshrrev_b16_e32 v13, 3, v13
	v_mul_lo_u16_e32 v13, 11, v13
	v_sub_u16_e32 v26, v26, v13
	v_and_b32_e32 v13, 0xff, v26
	v_lshlrev_b32_e32 v27, 2, v13
	global_load_dword v27, v27, s[14:15]
	v_lshrrev_b32_e32 v32, 16, v4
	v_lshrrev_b32_e32 v38, 16, v7
	s_waitcnt lgkmcnt(0)
	v_lshrrev_b32_e32 v40, 16, v11
	v_lshrrev_b32_e32 v42, 16, v12
	v_cmp_lt_u16_e64 s[2:3], 10, v20
	v_lshrrev_b32_e32 v36, 16, v5
	s_load_dwordx4 s[8:11], s[8:9], 0x0
	s_waitcnt vmcnt(0) lgkmcnt(0)
	s_barrier
	v_lshrrev_b32_e32 v39, 16, v2
	v_lshrrev_b32_e32 v41, 16, v3
	v_mul_f16_sdwa v44, v6, v28 dst_sel:DWORD dst_unused:UNUSED_PAD src0_sel:DWORD src1_sel:WORD_1
	v_mul_f16_sdwa v43, v33, v28 dst_sel:DWORD dst_unused:UNUSED_PAD src0_sel:DWORD src1_sel:WORD_1
	v_fma_f16 v33, v33, v28, v44
	v_sub_f16_e32 v33, v32, v33
	v_fma_f16 v6, v6, v28, -v43
	v_fma_f16 v43, v32, 2.0, -v33
	v_sub_f16_e32 v6, v4, v6
	v_fma_f16 v4, v4, 2.0, -v6
	v_mul_f16_sdwa v32, v38, v31 dst_sel:DWORD dst_unused:UNUSED_PAD src0_sel:DWORD src1_sel:WORD_1
	v_mul_f16_sdwa v44, v7, v31 dst_sel:DWORD dst_unused:UNUSED_PAD src0_sel:DWORD src1_sel:WORD_1
	;; [unrolled: 1-line block ×6, first 2 shown]
	v_fma_f16 v7, v7, v31, -v32
	v_fma_f16 v32, v38, v31, v44
	v_fma_f16 v38, v40, v30, v46
	;; [unrolled: 1-line block ×3, first 2 shown]
	v_sub_f16_e32 v7, v5, v7
	v_fma_f16 v11, v11, v30, -v45
	v_fma_f16 v5, v5, 2.0, -v7
	v_mul_f16_sdwa v42, v9, v27 dst_sel:DWORD dst_unused:UNUSED_PAD src0_sel:DWORD src1_sel:WORD_1
	v_mul_f16_sdwa v44, v1, v27 dst_sel:DWORD dst_unused:UNUSED_PAD src0_sel:DWORD src1_sel:WORD_1
	v_fma_f16 v1, v1, v27, -v42
	v_fma_f16 v42, v9, v27, v44
	v_sub_f16_e32 v9, v0, v1
	v_cndmask_b32_e64 v1, 0, 22, s[2:3]
	v_add_u32_e32 v1, v17, v1
	v_sub_f16_e32 v44, v36, v32
	v_add_lshl_u32 v32, v15, v1, 2
	v_pack_b32_f16 v1, v4, v43
	v_pack_b32_f16 v4, v6, v33
	ds_write2_b32 v32, v1, v4 offset1:11
	v_mad_legacy_u16 v1, v21, 22, v18
	v_fma_f16 v45, v36, 2.0, -v44
	v_and_b32_e32 v1, 0xff, v1
	v_add_lshl_u32 v33, v15, v1, 2
	v_pack_b32_f16 v1, v5, v45
	v_pack_b32_f16 v4, v7, v44
	v_sub_f16_e32 v11, v2, v11
	v_sub_f16_e32 v38, v39, v38
	ds_write2_b32 v33, v1, v4 offset1:11
	v_mul_u32_u24_e32 v1, 22, v34
	v_fma_f16 v2, v2, 2.0, -v11
	v_fma_f16 v39, v39, 2.0, -v38
	v_add_u32_sdwa v1, v1, v35 dst_sel:DWORD dst_unused:UNUSED_PAD src0_sel:DWORD src1_sel:BYTE_0
	v_fma_f16 v12, v12, v29, -v47
	v_add_lshl_u32 v34, v15, v1, 2
	v_pack_b32_f16 v1, v2, v39
	v_pack_b32_f16 v2, v11, v38
	v_sub_f16_e32 v12, v3, v12
	v_sub_f16_e32 v40, v41, v40
	ds_write2_b32 v34, v1, v2 offset1:11
	v_mul_u32_u24_e32 v1, 22, v14
	v_fma_f16 v3, v3, 2.0, -v12
	v_fma_f16 v41, v41, 2.0, -v40
	v_add_u32_sdwa v1, v1, v37 dst_sel:DWORD dst_unused:UNUSED_PAD src0_sel:DWORD src1_sel:BYTE_0
	v_sub_f16_e32 v36, v16, v42
	v_add_lshl_u32 v35, v15, v1, 2
	v_pack_b32_f16 v1, v3, v41
	v_pack_b32_f16 v2, v12, v40
	ds_write2_b32 v35, v1, v2 offset1:11
	s_and_saveexec_b64 s[2:3], s[0:1]
	s_cbranch_execz .LBB0_11
; %bb.10:
	v_fma_f16 v0, v0, 2.0, -v9
	v_fma_f16 v1, v16, 2.0, -v36
	s_mov_b32 s4, 0x5040100
	v_add_lshl_u32 v2, v15, v13, 2
	v_pack_b32_f16 v0, v0, v1
	v_perm_b32 v1, v36, v9, s4
	ds_write2_b32 v2, v0, v1 offset0:176 offset1:187
.LBB0_11:
	s_or_b64 exec, exec, s[2:3]
	v_lshlrev_b32_e32 v11, 5, v20
	s_waitcnt lgkmcnt(0)
	s_barrier
	global_load_dwordx4 v[0:3], v11, s[14:15] offset:44
	global_load_dwordx4 v[4:7], v11, s[14:15] offset:60
	ds_read2_b32 v[16:17], v24 offset1:22
	ds_read2_b32 v[11:12], v24 offset0:44 offset1:66
	ds_read2_b32 v[13:14], v24 offset0:88 offset1:110
	;; [unrolled: 1-line block ×3, first 2 shown]
	ds_read_b32 v15, v24 offset:704
	s_waitcnt lgkmcnt(4)
	v_lshrrev_b32_e32 v18, 16, v17
	s_waitcnt lgkmcnt(3)
	v_lshrrev_b32_e32 v39, 16, v11
	v_lshrrev_b32_e32 v40, 16, v12
	s_waitcnt lgkmcnt(2)
	v_lshrrev_b32_e32 v41, 16, v13
	s_waitcnt lgkmcnt(0)
	v_lshrrev_b32_e32 v45, 16, v15
	v_lshrrev_b32_e32 v42, 16, v14
	;; [unrolled: 1-line block ×4, first 2 shown]
	s_movk_i32 s5, 0x3a21
	s_movk_i32 s2, 0x3be1
	;; [unrolled: 1-line block ×3, first 2 shown]
	v_lshrrev_b32_e32 v21, 16, v16
	s_movk_i32 s3, 0x3aee
	s_movk_i32 s4, 0x3579
	s_mov_b32 s15, 0xbb84
	s_mov_b32 s16, 0xb924
	s_waitcnt vmcnt(1)
	v_mul_f16_sdwa v46, v18, v0 dst_sel:DWORD dst_unused:UNUSED_PAD src0_sel:DWORD src1_sel:WORD_1
	v_mul_f16_sdwa v47, v17, v0 dst_sel:DWORD dst_unused:UNUSED_PAD src0_sel:DWORD src1_sel:WORD_1
	;; [unrolled: 1-line block ×3, first 2 shown]
	s_waitcnt vmcnt(0)
	v_mul_f16_sdwa v60, v45, v7 dst_sel:DWORD dst_unused:UNUSED_PAD src0_sel:DWORD src1_sel:WORD_1
	v_mul_f16_sdwa v61, v15, v7 dst_sel:DWORD dst_unused:UNUSED_PAD src0_sel:DWORD src1_sel:WORD_1
	;; [unrolled: 1-line block ×10, first 2 shown]
	v_fma_f16 v17, v17, v0, -v46
	v_fma_f16 v18, v18, v0, v47
	v_fma_f16 v47, v41, v3, v53
	v_fma_f16 v15, v15, v7, -v60
	v_fma_f16 v41, v45, v7, v61
	v_mul_f16_sdwa v51, v12, v2 dst_sel:DWORD dst_unused:UNUSED_PAD src0_sel:DWORD src1_sel:WORD_1
	v_mul_f16_sdwa v55, v14, v4 dst_sel:DWORD dst_unused:UNUSED_PAD src0_sel:DWORD src1_sel:WORD_1
	;; [unrolled: 1-line block ×3, first 2 shown]
	v_fma_f16 v11, v11, v1, -v48
	v_fma_f16 v39, v39, v1, v49
	v_fma_f16 v12, v12, v2, -v50
	v_fma_f16 v46, v13, v3, -v52
	;; [unrolled: 1-line block ×5, first 2 shown]
	v_fma_f16 v38, v44, v6, v59
	v_add_f16_e32 v45, v17, v15
	v_sub_f16_e32 v17, v17, v15
	v_sub_f16_e32 v54, v18, v41
	v_fma_f16 v40, v40, v2, v51
	v_fma_f16 v42, v42, v4, v55
	;; [unrolled: 1-line block ×3, first 2 shown]
	v_add_f16_e32 v49, v18, v41
	v_add_f16_e32 v50, v11, v37
	;; [unrolled: 1-line block ×3, first 2 shown]
	v_sub_f16_e32 v55, v11, v37
	v_sub_f16_e32 v56, v39, v38
	;; [unrolled: 1-line block ×3, first 2 shown]
	v_mul_f16_e32 v11, 0x3924, v17
	v_mul_f16_e32 v12, 0x3924, v54
	v_fma_f16 v13, v45, s5, v16
	v_add_f16_e32 v51, v39, v38
	v_add_f16_e32 v53, v40, v14
	v_sub_f16_e32 v40, v40, v14
	v_fma_f16 v14, v49, s5, v21
	v_fma_f16 v11, v55, s2, v11
	;; [unrolled: 1-line block ×4, first 2 shown]
	v_sub_f16_e32 v58, v46, v48
	v_sub_f16_e32 v59, v47, v42
	v_add_f16_e32 v60, v46, v48
	v_fma_f16 v14, v51, s14, v14
	v_fma_f16 v11, v57, s3, v11
	;; [unrolled: 1-line block ×3, first 2 shown]
	v_fma_f16 v13, v52, -0.5, v13
	v_add_f16_e32 v61, v47, v42
	v_fma_f16 v14, v53, -0.5, v14
	v_fma_f16 v15, v58, s4, v11
	v_fma_f16 v12, v59, s4, v12
	;; [unrolled: 1-line block ×4, first 2 shown]
	v_add_f16_e32 v11, v12, v11
	v_sub_f16_e32 v37, v13, v15
	v_fma_f16 v14, v12, -2.0, v11
	v_mul_f16_e32 v12, 0xb924, v58
	v_mul_f16_e32 v13, 0xb924, v59
	v_fma_f16 v18, v61, s5, v21
	v_fma_f16 v12, v17, s2, v12
	;; [unrolled: 1-line block ×3, first 2 shown]
	s_mov_b32 s2, 0xbaee
	v_fma_f16 v18, v49, s14, v18
	v_fma_f16 v12, v57, s2, v12
	v_fma_f16 v18, v53, -0.5, v18
	v_fma_f16 v39, v15, 2.0, v37
	v_fma_f16 v15, v55, s4, v12
	v_fma_f16 v18, v51, s15, v18
	v_sub_f16_e32 v38, v18, v15
	v_fma_f16 v13, v40, s2, v13
	v_fma_f16 v41, v15, 2.0, v38
	v_add_f16_e32 v15, v58, v17
	v_add_f16_e32 v18, v59, v54
	v_mul_f16_e32 v58, 0x3be1, v58
	v_mul_f16_e32 v59, 0x3be1, v59
	v_fma_f16 v13, v56, s4, v13
	v_sub_f16_e32 v43, v15, v55
	v_sub_f16_e32 v15, v18, v56
	v_fma_f16 v55, v55, s16, -v58
	v_fma_f16 v56, v56, s16, -v59
	v_add_f16_e32 v64, v50, v45
	v_add_f16_e32 v65, v51, v49
	v_fma_f16 v55, v57, s3, v55
	v_fma_f16 v40, v40, s3, v56
	;; [unrolled: 1-line block ×4, first 2 shown]
	v_add_f16_e32 v40, v52, v64
	v_add_f16_e32 v54, v53, v65
	;; [unrolled: 1-line block ×5, first 2 shown]
	v_fma_f16 v12, v60, s5, v16
	v_add_f16_e32 v63, v53, v21
	v_add_f16_e32 v40, v48, v40
	;; [unrolled: 1-line block ×3, first 2 shown]
	v_fma_f16 v21, v51, s5, v21
	v_fma_f16 v12, v45, s14, v12
	v_add_f16_e32 v62, v52, v16
	v_add_f16_e32 v40, v40, v16
	v_fma_f16 v16, v50, s5, v16
	v_fma_f16 v21, v61, s14, v21
	v_fma_f16 v12, v52, -0.5, v12
	v_fma_f16 v16, v60, s14, v16
	v_fma_f16 v21, v53, -0.5, v21
	v_fma_f16 v12, v50, s15, v12
	v_add_f16_e32 v66, v60, v64
	v_add_f16_e32 v67, v61, v65
	v_fma_f16 v16, v52, -0.5, v16
	v_fma_f16 v21, v49, s15, v21
	v_add_f16_e32 v12, v13, v12
	v_fma_f16 v62, v66, -0.5, v62
	v_fma_f16 v63, v67, -0.5, v63
	v_fma_f16 v16, v45, s15, v16
	v_sub_f16_e32 v45, v21, v55
	v_lshl_add_u32 v21, v20, 2, v22
	v_pack_b32_f16 v47, v40, v42
	v_mul_f16_e32 v44, 0x3aee, v43
	v_mul_f16_e32 v18, 0x3aee, v15
	v_fma_f16 v15, v15, s3, v62
	v_fma_f16 v43, v43, s2, v63
	v_add_f16_e32 v16, v17, v16
	ds_write_b32 v21, v47
	v_pack_b32_f16 v47, v11, v37
	v_pack_b32_f16 v48, v12, v38
	v_fma_f16 v18, v18, -2.0, v15
	v_fma_f16 v44, v44, 2.0, v43
	v_fma_f16 v17, v17, -2.0, v16
	v_fma_f16 v46, v55, 2.0, v45
	ds_write2_b32 v21, v47, v48 offset0:22 offset1:44
	v_pack_b32_f16 v47, v15, v43
	v_pack_b32_f16 v48, v16, v45
	v_fma_f16 v13, v13, -2.0, v12
	ds_write2_b32 v21, v47, v48 offset0:66 offset1:88
	v_pack_b32_f16 v47, v17, v46
	v_pack_b32_f16 v48, v18, v44
	ds_write2_b32 v21, v47, v48 offset0:110 offset1:132
	v_pack_b32_f16 v47, v13, v41
	v_pack_b32_f16 v48, v14, v39
	ds_write2_b32 v21, v47, v48 offset0:154 offset1:176
	s_waitcnt lgkmcnt(0)
	s_barrier
	s_and_saveexec_b64 s[2:3], vcc
	s_cbranch_execz .LBB0_13
; %bb.12:
	global_load_dword v49, v19, s[6:7] offset:792
	ds_read_b32 v47, v21
	s_add_u32 s4, s6, 0x318
	s_addc_u32 s5, s7, 0
	s_waitcnt lgkmcnt(0)
	v_lshrrev_b32_e32 v48, 16, v47
	s_waitcnt vmcnt(0)
	v_mul_f16_sdwa v50, v48, v49 dst_sel:DWORD dst_unused:UNUSED_PAD src0_sel:DWORD src1_sel:WORD_1
	v_fma_f16 v50, v47, v49, -v50
	v_mul_f16_sdwa v47, v47, v49 dst_sel:DWORD dst_unused:UNUSED_PAD src0_sel:DWORD src1_sel:WORD_1
	v_fma_f16 v47, v48, v49, v47
	v_pack_b32_f16 v47, v50, v47
	global_load_dword v50, v19, s[4:5] offset:72
	ds_write_b32 v21, v47
	ds_read2_b32 v[47:48], v21 offset0:18 offset1:36
	s_waitcnt lgkmcnt(0)
	v_lshrrev_b32_e32 v49, 16, v47
	s_waitcnt vmcnt(0)
	v_mul_f16_sdwa v51, v49, v50 dst_sel:DWORD dst_unused:UNUSED_PAD src0_sel:DWORD src1_sel:WORD_1
	v_fma_f16 v51, v47, v50, -v51
	v_mul_f16_sdwa v47, v47, v50 dst_sel:DWORD dst_unused:UNUSED_PAD src0_sel:DWORD src1_sel:WORD_1
	v_fma_f16 v47, v49, v50, v47
	global_load_dword v50, v19, s[4:5] offset:144
	v_lshrrev_b32_e32 v49, 16, v48
	v_pack_b32_f16 v47, v51, v47
	s_waitcnt vmcnt(0)
	v_mul_f16_sdwa v51, v49, v50 dst_sel:DWORD dst_unused:UNUSED_PAD src0_sel:DWORD src1_sel:WORD_1
	v_fma_f16 v51, v48, v50, -v51
	v_mul_f16_sdwa v48, v48, v50 dst_sel:DWORD dst_unused:UNUSED_PAD src0_sel:DWORD src1_sel:WORD_1
	v_fma_f16 v48, v49, v50, v48
	global_load_dword v50, v19, s[4:5] offset:216
	v_pack_b32_f16 v48, v51, v48
	ds_write2_b32 v21, v47, v48 offset0:18 offset1:36
	ds_read2_b32 v[47:48], v21 offset0:54 offset1:72
	s_waitcnt lgkmcnt(0)
	v_lshrrev_b32_e32 v49, 16, v47
	s_waitcnt vmcnt(0)
	v_mul_f16_sdwa v51, v49, v50 dst_sel:DWORD dst_unused:UNUSED_PAD src0_sel:DWORD src1_sel:WORD_1
	v_fma_f16 v51, v47, v50, -v51
	v_mul_f16_sdwa v47, v47, v50 dst_sel:DWORD dst_unused:UNUSED_PAD src0_sel:DWORD src1_sel:WORD_1
	v_fma_f16 v47, v49, v50, v47
	global_load_dword v50, v19, s[4:5] offset:288
	v_lshrrev_b32_e32 v49, 16, v48
	v_pack_b32_f16 v47, v51, v47
	s_waitcnt vmcnt(0)
	v_mul_f16_sdwa v51, v49, v50 dst_sel:DWORD dst_unused:UNUSED_PAD src0_sel:DWORD src1_sel:WORD_1
	v_fma_f16 v51, v48, v50, -v51
	v_mul_f16_sdwa v48, v48, v50 dst_sel:DWORD dst_unused:UNUSED_PAD src0_sel:DWORD src1_sel:WORD_1
	v_fma_f16 v48, v49, v50, v48
	global_load_dword v50, v19, s[4:5] offset:360
	v_pack_b32_f16 v48, v51, v48
	ds_write2_b32 v21, v47, v48 offset0:54 offset1:72
	;; [unrolled: 19-line block ×4, first 2 shown]
	ds_read2_b32 v[47:48], v21 offset0:162 offset1:180
	s_waitcnt lgkmcnt(0)
	v_lshrrev_b32_e32 v49, 16, v47
	s_waitcnt vmcnt(0)
	v_mul_f16_sdwa v51, v49, v50 dst_sel:DWORD dst_unused:UNUSED_PAD src0_sel:DWORD src1_sel:WORD_1
	v_fma_f16 v51, v47, v50, -v51
	v_mul_f16_sdwa v47, v47, v50 dst_sel:DWORD dst_unused:UNUSED_PAD src0_sel:DWORD src1_sel:WORD_1
	v_fma_f16 v47, v49, v50, v47
	global_load_dword v50, v19, s[4:5] offset:720
	v_lshrrev_b32_e32 v49, 16, v48
	v_pack_b32_f16 v47, v51, v47
	s_waitcnt vmcnt(0)
	v_mul_f16_sdwa v51, v49, v50 dst_sel:DWORD dst_unused:UNUSED_PAD src0_sel:DWORD src1_sel:WORD_1
	v_fma_f16 v51, v48, v50, -v51
	v_mul_f16_sdwa v48, v48, v50 dst_sel:DWORD dst_unused:UNUSED_PAD src0_sel:DWORD src1_sel:WORD_1
	v_fma_f16 v48, v49, v50, v48
	v_pack_b32_f16 v48, v51, v48
	ds_write2_b32 v21, v47, v48 offset0:162 offset1:180
.LBB0_13:
	s_or_b64 exec, exec, s[2:3]
	s_waitcnt lgkmcnt(0)
	s_barrier
	s_and_saveexec_b64 s[2:3], vcc
	s_cbranch_execz .LBB0_15
; %bb.14:
	ds_read_b32 v40, v21
	ds_read2_b32 v[11:12], v21 offset0:18 offset1:36
	ds_read2_b32 v[15:16], v21 offset0:54 offset1:72
	;; [unrolled: 1-line block ×5, first 2 shown]
	s_waitcnt lgkmcnt(5)
	v_lshrrev_b32_e32 v42, 16, v40
	s_waitcnt lgkmcnt(4)
	v_lshrrev_b32_e32 v37, 16, v11
	v_lshrrev_b32_e32 v38, 16, v12
	s_waitcnt lgkmcnt(3)
	v_lshrrev_b32_e32 v43, 16, v15
	;; [unrolled: 3-line block ×5, first 2 shown]
	v_lshrrev_b32_e32 v25, 16, v10
.LBB0_15:
	s_or_b64 exec, exec, s[2:3]
	v_sub_f16_e32 v56, v37, v25
	v_add_f16_e32 v51, v10, v11
	v_add_f16_e32 v59, v25, v37
	s_movk_i32 s4, 0x36a6
	v_mul_f16_e32 v63, 0xbb47, v56
	v_sub_f16_e32 v61, v38, v36
	v_sub_f16_e32 v52, v11, v10
	s_mov_b32 s14, 0xbb47
	v_mul_f16_e32 v67, 0x36a6, v59
	v_fma_f16 v47, v51, s4, -v63
	v_add_f16_e32 v53, v9, v12
	v_add_f16_e32 v64, v36, v38
	s_mov_b32 s15, 0xb93d
	v_mul_f16_e32 v68, 0xba0c, v61
	v_add_f16_e32 v47, v40, v47
	v_fma_f16 v48, v52, s14, v67
	s_mov_b32 s5, 0xb08e
	v_mul_f16_e32 v71, 0xbbeb, v56
	v_sub_f16_e32 v54, v12, v9
	s_mov_b32 s18, 0xba0c
	v_mul_f16_e32 v72, 0xb93d, v64
	v_fma_f16 v55, v53, s15, -v68
	v_add_f16_e32 v48, v42, v48
	s_mov_b32 s16, 0xbbeb
	v_mul_f16_e32 v76, 0xb08e, v59
	v_fma_f16 v49, v51, s5, -v71
	v_add_f16_e32 v47, v55, v47
	v_fma_f16 v55, v54, s18, v72
	s_mov_b32 s17, 0xbbad
	v_mul_f16_e32 v78, 0x3482, v61
	v_add_f16_e32 v49, v40, v49
	v_fma_f16 v50, v52, s16, v76
	v_add_f16_e32 v48, v55, v48
	s_movk_i32 s21, 0x3482
	v_mul_f16_e32 v81, 0xbbad, v64
	v_fma_f16 v55, v53, s17, -v78
	v_add_f16_e32 v50, v42, v50
	v_add_f16_e32 v49, v55, v49
	v_fma_f16 v55, v54, s21, v81
	v_sub_f16_e32 v66, v43, v39
	v_add_f16_e32 v50, v55, v50
	v_add_f16_e32 v55, v14, v15
	;; [unrolled: 1-line block ×3, first 2 shown]
	v_mul_f16_e32 v74, 0x3482, v66
	v_sub_f16_e32 v57, v15, v14
	v_mul_f16_e32 v77, 0xbbad, v69
	v_fma_f16 v58, v55, s17, -v74
	v_add_f16_e32 v47, v58, v47
	v_fma_f16 v58, v57, s21, v77
	v_mul_f16_e32 v82, 0x3b47, v66
	v_add_f16_e32 v48, v58, v48
	s_movk_i32 s22, 0x3b47
	v_mul_f16_e32 v85, 0x36a6, v69
	v_fma_f16 v58, v55, s4, -v82
	v_add_f16_e32 v49, v58, v49
	v_fma_f16 v58, v57, s22, v85
	v_sub_f16_e32 v70, v45, v41
	v_add_f16_e32 v50, v58, v50
	v_add_f16_e32 v58, v13, v16
	;; [unrolled: 1-line block ×3, first 2 shown]
	v_mul_f16_e32 v80, 0x3beb, v70
	v_sub_f16_e32 v60, v16, v13
	s_movk_i32 s23, 0x3beb
	v_mul_f16_e32 v83, 0xb08e, v73
	v_fma_f16 v62, v58, s5, -v80
	v_add_f16_e32 v47, v62, v47
	v_fma_f16 v62, v60, s23, v83
	s_movk_i32 s19, 0x3abb
	v_mul_f16_e32 v86, 0xb853, v70
	v_add_f16_e32 v48, v62, v48
	s_mov_b32 s20, 0xb853
	v_mul_f16_e32 v88, 0x3abb, v73
	v_fma_f16 v62, v58, s19, -v86
	v_sub_f16_e32 v75, v46, v44
	v_add_f16_e32 v91, v62, v49
	v_fma_f16 v49, v60, s20, v88
	v_add_f16_e32 v62, v18, v17
	v_add_f16_e32 v79, v44, v46
	v_mul_f16_e32 v84, 0x3853, v75
	v_add_f16_e32 v50, v49, v50
	v_sub_f16_e32 v65, v17, v18
	s_movk_i32 s24, 0x3853
	v_mul_f16_e32 v87, 0x3abb, v79
	v_fma_f16 v49, v62, s19, -v84
	v_add_f16_e32 v47, v49, v47
	v_fma_f16 v49, v65, s24, v87
	v_mul_f16_e32 v89, 0xba0c, v75
	v_add_f16_e32 v49, v49, v48
	v_mul_f16_e32 v90, 0xb93d, v79
	v_fma_f16 v48, v62, s15, -v89
	v_add_f16_e32 v48, v48, v91
	v_fma_f16 v91, v65, s18, v90
	v_add_f16_e32 v50, v91, v50
	s_barrier
	s_and_saveexec_b64 s[2:3], vcc
	s_cbranch_execz .LBB0_17
; %bb.16:
	v_mul_f16_e32 v111, 0xba0c, v52
	v_fma_f16 v112, v59, s15, v111
	v_mul_f16_e32 v113, 0x3beb, v54
	v_add_f16_e32 v112, v42, v112
	v_fma_f16 v114, v64, s5, v113
	v_add_f16_e32 v112, v114, v112
	v_mul_f16_e32 v114, 0xb853, v57
	v_fma_f16 v115, v69, s19, v114
	v_add_f16_e32 v112, v115, v112
	v_mul_f16_e32 v115, 0xb482, v60
	;; [unrolled: 3-line block ×4, first 2 shown]
	v_fma_f16 v118, v51, s15, -v117
	v_mul_f16_e32 v119, 0x3beb, v61
	v_add_f16_e32 v118, v40, v118
	v_fma_f16 v120, v53, s5, -v119
	v_add_f16_e32 v118, v120, v118
	v_mul_f16_e32 v120, 0xb853, v66
	v_fma_f16 v121, v55, s19, -v120
	v_add_f16_e32 v118, v121, v118
	v_mul_f16_e32 v121, 0xb482, v70
	;; [unrolled: 3-line block ×3, first 2 shown]
	v_fma_f16 v123, v62, s4, -v122
	v_mul_f16_e32 v91, 0x36a6, v51
	v_add_f16_e32 v118, v123, v118
	v_mul_f16_e32 v123, 0xb482, v52
	v_add_f16_e32 v11, v11, v40
	v_mul_f16_e32 v92, 0xbb47, v52
	v_mul_f16_e32 v95, 0xb93d, v53
	v_fma_f16 v124, v59, s17, v123
	v_mul_f16_e32 v125, 0x3853, v54
	v_add_f16_e32 v63, v91, v63
	v_add_f16_e32 v11, v12, v11
	v_mul_f16_e32 v96, 0xba0c, v54
	v_mul_f16_e32 v99, 0xbbad, v55
	v_add_f16_e32 v124, v42, v124
	v_fma_f16 v126, v64, s19, v125
	v_sub_f16_e32 v67, v67, v92
	v_add_f16_e32 v63, v40, v63
	v_add_f16_e32 v68, v95, v68
	;; [unrolled: 1-line block ×3, first 2 shown]
	v_mul_f16_e32 v100, 0x3482, v57
	v_mul_f16_e32 v103, 0xb08e, v58
	v_add_f16_e32 v124, v126, v124
	v_mul_f16_e32 v126, 0xba0c, v57
	v_add_f16_e32 v67, v42, v67
	v_sub_f16_e32 v72, v72, v96
	v_add_f16_e32 v63, v68, v63
	v_add_f16_e32 v68, v99, v74
	;; [unrolled: 1-line block ×3, first 2 shown]
	v_mul_f16_e32 v104, 0x3beb, v60
	v_mul_f16_e32 v107, 0x3abb, v62
	v_fma_f16 v127, v69, s15, v126
	v_add_f16_e32 v67, v72, v67
	v_sub_f16_e32 v72, v77, v100
	v_add_f16_e32 v63, v68, v63
	v_add_f16_e32 v68, v103, v80
	;; [unrolled: 1-line block ×3, first 2 shown]
	v_mul_f16_e32 v108, 0x3853, v65
	v_add_f16_e32 v124, v127, v124
	v_mul_f16_e32 v127, 0x3b47, v60
	v_fma_f16 v123, v59, s17, -v123
	v_fma_f16 v111, v59, s15, -v111
	v_add_f16_e32 v67, v72, v67
	v_sub_f16_e32 v72, v83, v104
	v_add_f16_e32 v63, v68, v63
	v_add_f16_e32 v68, v107, v84
	v_mul_f16_e32 v59, 0x3abb, v59
	v_add_f16_e32 v11, v18, v11
	v_fma_f16 v128, v73, s4, v127
	v_add_f16_e32 v123, v42, v123
	v_fma_f16 v125, v64, s19, -v125
	v_add_f16_e32 v111, v42, v111
	v_fma_f16 v113, v64, s5, -v113
	v_add_f16_e32 v67, v72, v67
	v_sub_f16_e32 v72, v87, v108
	v_add_f16_e32 v63, v68, v63
	v_fma_f16 v68, v52, s24, v59
	v_mul_f16_e32 v64, 0x36a6, v64
	v_add_f16_e32 v11, v13, v11
	v_add_f16_e32 v124, v128, v124
	v_mul_f16_e32 v128, 0xbbeb, v65
	v_add_f16_e32 v123, v125, v123
	v_fma_f16 v125, v69, s15, -v126
	v_add_f16_e32 v111, v113, v111
	v_fma_f16 v113, v69, s19, -v114
	v_add_f16_e32 v67, v72, v67
	v_add_f16_e32 v68, v42, v68
	v_fma_f16 v72, v54, s22, v64
	v_mul_f16_e32 v69, 0xb08e, v69
	v_add_f16_e32 v11, v14, v11
	v_fma_f16 v129, v79, s5, v128
	v_add_f16_e32 v68, v72, v68
	v_fma_f16 v72, v57, s23, v69
	v_add_f16_e32 v9, v9, v11
	v_add_f16_e32 v124, v129, v124
	v_mul_f16_e32 v129, 0xb482, v56
	v_add_f16_e32 v68, v72, v68
	v_mul_f16_e32 v72, 0xb93d, v73
	s_movk_i32 s22, 0x3a0c
	v_add_f16_e32 v9, v10, v9
	v_add_f16_e32 v10, v37, v42
	v_fma_f16 v11, v52, s20, v59
	v_fma_f16 v130, v51, s17, -v129
	v_mul_f16_e32 v131, 0x3853, v61
	v_add_f16_e32 v123, v125, v123
	v_fma_f16 v125, v73, s4, -v127
	v_add_f16_e32 v111, v113, v111
	v_fma_f16 v113, v73, s17, -v115
	v_fma_f16 v73, v60, s22, v72
	v_add_f16_e32 v10, v38, v10
	v_add_f16_e32 v11, v42, v11
	v_fma_f16 v12, v54, s14, v64
	v_add_f16_e32 v130, v40, v130
	v_fma_f16 v132, v53, s19, -v131
	v_add_f16_e32 v68, v73, v68
	v_mul_f16_e32 v73, 0xbbad, v79
	v_add_f16_e32 v10, v43, v10
	v_add_f16_e32 v11, v12, v11
	v_fma_f16 v12, v57, s16, v69
	s_mov_b32 s25, 0xb482
	v_add_f16_e32 v130, v132, v130
	v_mul_f16_e32 v132, 0xba0c, v66
	v_fma_f16 v74, v65, s21, v73
	v_mul_f16_e32 v56, 0xb853, v56
	v_add_f16_e32 v10, v45, v10
	v_add_f16_e32 v11, v12, v11
	v_fma_f16 v12, v60, s18, v72
	v_mul_f16_e32 v93, 0xb08e, v51
	v_mul_f16_e32 v94, 0xbbeb, v52
	v_fma_f16 v133, v55, s15, -v132
	v_add_f16_e32 v68, v74, v68
	v_fma_f16 v74, v51, s19, v56
	v_mul_f16_e32 v61, 0xbb47, v61
	v_add_f16_e32 v10, v46, v10
	v_add_f16_e32 v11, v12, v11
	v_fma_f16 v12, v65, s25, v73
	v_mul_f16_e32 v97, 0xbbad, v53
	v_mul_f16_e32 v98, 0x3482, v54
	v_add_f16_e32 v130, v133, v130
	v_mul_f16_e32 v133, 0x3b47, v70
	v_add_f16_e32 v123, v125, v123
	v_fma_f16 v125, v79, s5, -v128
	v_add_f16_e32 v111, v113, v111
	v_fma_f16 v113, v79, s4, -v116
	v_sub_f16_e32 v76, v76, v94
	v_add_f16_e32 v71, v93, v71
	v_add_f16_e32 v74, v40, v74
	v_fma_f16 v77, v53, s4, v61
	v_mul_f16_e32 v66, 0xbbeb, v66
	v_add_f16_e32 v10, v44, v10
	v_add_f16_e32 v11, v12, v11
	v_fma_f16 v12, v51, s19, -v56
	v_mul_f16_e32 v101, 0x36a6, v55
	v_mul_f16_e32 v102, 0x3b47, v57
	v_fma_f16 v134, v58, s4, -v133
	v_add_f16_e32 v123, v125, v123
	v_fma_f16 v125, v51, s17, v129
	v_add_f16_e32 v111, v113, v111
	v_fma_f16 v113, v51, s15, v117
	v_add_f16_e32 v76, v42, v76
	v_sub_f16_e32 v81, v81, v98
	v_add_f16_e32 v71, v40, v71
	v_add_f16_e32 v78, v97, v78
	;; [unrolled: 1-line block ×3, first 2 shown]
	v_fma_f16 v77, v55, s5, v66
	v_mul_f16_e32 v70, 0xba0c, v70
	v_add_f16_e32 v10, v41, v10
	v_add_f16_e32 v12, v40, v12
	v_fma_f16 v13, v53, s4, -v61
	v_mul_f16_e32 v105, 0x3abb, v58
	v_mul_f16_e32 v106, 0xb853, v60
	v_add_f16_e32 v130, v134, v130
	v_mul_f16_e32 v134, 0xbbeb, v75
	v_add_f16_e32 v125, v40, v125
	v_fma_f16 v126, v53, s19, v131
	v_add_f16_e32 v113, v40, v113
	v_fma_f16 v114, v53, s5, v119
	v_add_f16_e32 v76, v81, v76
	v_sub_f16_e32 v81, v85, v102
	v_add_f16_e32 v71, v78, v71
	v_add_f16_e32 v78, v101, v82
	;; [unrolled: 1-line block ×3, first 2 shown]
	v_fma_f16 v77, v58, s15, v70
	v_mul_f16_e32 v75, 0xb482, v75
	v_add_f16_e32 v10, v39, v10
	v_add_f16_e32 v12, v13, v12
	v_fma_f16 v13, v55, s5, -v66
	v_mul_f16_e32 v109, 0xb93d, v62
	v_mul_f16_e32 v110, 0xba0c, v65
	v_add_f16_e32 v125, v126, v125
	v_fma_f16 v126, v55, s15, v132
	v_add_f16_e32 v113, v114, v113
	v_fma_f16 v114, v55, s19, v120
	v_add_f16_e32 v76, v81, v76
	v_sub_f16_e32 v81, v88, v106
	v_add_f16_e32 v71, v78, v71
	v_add_f16_e32 v78, v105, v86
	;; [unrolled: 1-line block ×3, first 2 shown]
	v_fma_f16 v77, v62, s17, v75
	v_add_f16_e32 v10, v36, v10
	v_add_f16_e32 v12, v13, v12
	v_fma_f16 v13, v58, s15, -v70
	v_add_f16_e32 v125, v126, v125
	v_fma_f16 v126, v58, s4, v133
	v_add_f16_e32 v113, v114, v113
	v_fma_f16 v114, v58, s17, v121
	v_add_f16_e32 v76, v81, v76
	v_sub_f16_e32 v81, v90, v110
	v_add_f16_e32 v71, v78, v71
	v_add_f16_e32 v78, v109, v89
	;; [unrolled: 1-line block ×5, first 2 shown]
	v_fma_f16 v13, v62, s17, -v75
	v_add_f16_e32 v125, v126, v125
	v_fma_f16 v126, v62, s5, v134
	v_add_f16_e32 v113, v114, v113
	v_fma_f16 v114, v62, s4, v122
	v_add_f16_e32 v76, v81, v76
	v_add_f16_e32 v71, v78, v71
	;; [unrolled: 1-line block ×3, first 2 shown]
	v_lshl_add_u32 v13, v23, 2, v22
	v_pack_b32_f16 v14, v74, v68
	v_pack_b32_f16 v9, v9, v10
	v_fma_f16 v135, v62, s5, -v134
	v_add_f16_e32 v125, v126, v125
	v_add_f16_e32 v113, v114, v113
	ds_write2_b32 v13, v9, v14 offset1:1
	v_pack_b32_f16 v9, v71, v76
	v_pack_b32_f16 v10, v63, v67
	v_add_f16_e32 v130, v135, v130
	ds_write2_b32 v13, v10, v9 offset0:2 offset1:3
	v_pack_b32_f16 v9, v125, v123
	v_pack_b32_f16 v10, v113, v111
	ds_write2_b32 v13, v10, v9 offset0:4 offset1:5
	v_pack_b32_f16 v9, v118, v112
	v_pack_b32_f16 v10, v130, v124
	s_mov_b32 s4, 0x5040100
	ds_write2_b32 v13, v10, v9 offset0:6 offset1:7
	v_perm_b32 v9, v49, v47, s4
	v_perm_b32 v10, v50, v48, s4
	ds_write2_b32 v13, v10, v9 offset0:8 offset1:9
	v_pack_b32_f16 v9, v12, v11
	ds_write_b32 v13, v9 offset:40
.LBB0_17:
	s_or_b64 exec, exec, s[2:3]
	s_waitcnt lgkmcnt(0)
	s_barrier
	ds_read2_b32 v[11:12], v24 offset1:22
	ds_read2_b32 v[15:16], v24 offset0:99 offset1:121
	ds_read2_b32 v[9:10], v24 offset0:44 offset1:66
	;; [unrolled: 1-line block ×3, first 2 shown]
	s_and_saveexec_b64 s[2:3], s[0:1]
	s_cbranch_execz .LBB0_19
; %bb.18:
	ds_read_b32 v48, v24 offset:352
	ds_read_b32 v47, v24 offset:748
	s_waitcnt lgkmcnt(1)
	v_lshrrev_b32_e32 v50, 16, v48
	s_waitcnt lgkmcnt(0)
	v_lshrrev_b32_e32 v49, 16, v47
.LBB0_19:
	s_or_b64 exec, exec, s[2:3]
	s_waitcnt lgkmcnt(2)
	v_lshrrev_b32_e32 v18, 16, v15
	v_mul_f16_sdwa v40, v28, v18 dst_sel:DWORD dst_unused:UNUSED_PAD src0_sel:WORD_1 src1_sel:DWORD
	v_lshrrev_b32_e32 v25, 16, v16
	v_fma_f16 v40, v28, v15, v40
	v_mul_f16_sdwa v15, v28, v15 dst_sel:DWORD dst_unused:UNUSED_PAD src0_sel:WORD_1 src1_sel:DWORD
	s_waitcnt lgkmcnt(0)
	v_lshrrev_b32_e32 v39, 16, v14
	v_fma_f16 v15, v28, v18, -v15
	v_mul_f16_sdwa v18, v31, v25 dst_sel:DWORD dst_unused:UNUSED_PAD src0_sel:WORD_1 src1_sel:DWORD
	v_lshrrev_b32_e32 v37, 16, v13
	v_fma_f16 v18, v31, v16, v18
	v_mul_f16_sdwa v16, v31, v16 dst_sel:DWORD dst_unused:UNUSED_PAD src0_sel:WORD_1 src1_sel:DWORD
	v_mul_f16_sdwa v28, v29, v39 dst_sel:DWORD dst_unused:UNUSED_PAD src0_sel:WORD_1 src1_sel:DWORD
	v_lshrrev_b32_e32 v17, 16, v11
	v_fma_f16 v16, v31, v25, -v16
	v_mul_f16_sdwa v25, v30, v37 dst_sel:DWORD dst_unused:UNUSED_PAD src0_sel:WORD_1 src1_sel:DWORD
	v_fma_f16 v28, v29, v14, v28
	v_mul_f16_sdwa v14, v29, v14 dst_sel:DWORD dst_unused:UNUSED_PAD src0_sel:WORD_1 src1_sel:DWORD
	v_lshrrev_b32_e32 v23, 16, v12
	v_fma_f16 v25, v30, v13, v25
	v_mul_f16_sdwa v13, v30, v13 dst_sel:DWORD dst_unused:UNUSED_PAD src0_sel:WORD_1 src1_sel:DWORD
	v_fma_f16 v14, v29, v39, -v14
	v_sub_f16_e32 v29, v11, v40
	v_sub_f16_e32 v15, v17, v15
	v_lshrrev_b32_e32 v36, 16, v9
	v_fma_f16 v13, v30, v37, -v13
	v_fma_f16 v11, v11, 2.0, -v29
	v_fma_f16 v17, v17, 2.0, -v15
	v_sub_f16_e32 v18, v12, v18
	v_sub_f16_e32 v16, v23, v16
	v_lshrrev_b32_e32 v38, 16, v10
	v_fma_f16 v12, v12, 2.0, -v18
	v_fma_f16 v23, v23, 2.0, -v16
	v_sub_f16_e32 v25, v9, v25
	v_sub_f16_e32 v13, v36, v13
	v_pack_b32_f16 v11, v11, v17
	v_pack_b32_f16 v15, v29, v15
	v_fma_f16 v9, v9, 2.0, -v25
	v_fma_f16 v30, v36, 2.0, -v13
	v_sub_f16_e32 v28, v10, v28
	v_sub_f16_e32 v14, v38, v14
	s_barrier
	ds_write2_b32 v32, v11, v15 offset1:11
	v_pack_b32_f16 v11, v12, v23
	v_pack_b32_f16 v12, v18, v16
	v_fma_f16 v10, v10, 2.0, -v28
	v_fma_f16 v31, v38, 2.0, -v14
	ds_write2_b32 v33, v11, v12 offset1:11
	v_pack_b32_f16 v9, v9, v30
	v_pack_b32_f16 v11, v25, v13
	ds_write2_b32 v34, v9, v11 offset1:11
	v_pack_b32_f16 v9, v10, v31
	v_pack_b32_f16 v10, v28, v14
	ds_write2_b32 v35, v9, v10 offset1:11
	s_and_saveexec_b64 s[2:3], s[0:1]
	s_cbranch_execz .LBB0_21
; %bb.20:
	v_mul_f16_sdwa v9, v27, v49 dst_sel:DWORD dst_unused:UNUSED_PAD src0_sel:WORD_1 src1_sel:DWORD
	v_mul_f16_sdwa v11, v27, v47 dst_sel:DWORD dst_unused:UNUSED_PAD src0_sel:WORD_1 src1_sel:DWORD
	v_fma_f16 v9, v27, v47, v9
	v_fma_f16 v11, v27, v49, -v11
	v_sub_f16_e32 v9, v48, v9
	v_sub_f16_e32 v11, v50, v11
	v_fma_f16 v10, v48, 2.0, -v9
	v_fma_f16 v12, v50, 2.0, -v11
	v_and_b32_e32 v13, 0xff, v26
	v_lshl_add_u32 v13, v13, 2, v22
	v_pack_b32_f16 v10, v10, v12
	v_pack_b32_f16 v9, v9, v11
	ds_write2_b32 v13, v10, v9 offset0:176 offset1:187
.LBB0_21:
	s_or_b64 exec, exec, s[2:3]
	s_waitcnt lgkmcnt(0)
	s_barrier
	ds_read2_b32 v[9:10], v24 offset1:22
	ds_read2_b32 v[11:12], v24 offset0:44 offset1:66
	ds_read2_b32 v[13:14], v24 offset0:88 offset1:110
	;; [unrolled: 1-line block ×3, first 2 shown]
	ds_read_b32 v24, v24 offset:704
	s_waitcnt lgkmcnt(4)
	v_lshrrev_b32_e32 v18, 16, v10
	v_mul_f16_sdwa v30, v0, v18 dst_sel:DWORD dst_unused:UNUSED_PAD src0_sel:WORD_1 src1_sel:DWORD
	s_waitcnt lgkmcnt(3)
	v_lshrrev_b32_e32 v22, 16, v11
	v_fma_f16 v30, v0, v10, v30
	v_mul_f16_sdwa v10, v0, v10 dst_sel:DWORD dst_unused:UNUSED_PAD src0_sel:WORD_1 src1_sel:DWORD
	v_fma_f16 v0, v0, v18, -v10
	v_mul_f16_sdwa v10, v1, v22 dst_sel:DWORD dst_unused:UNUSED_PAD src0_sel:WORD_1 src1_sel:DWORD
	v_lshrrev_b32_e32 v23, 16, v12
	v_fma_f16 v10, v1, v11, v10
	v_mul_f16_sdwa v11, v1, v11 dst_sel:DWORD dst_unused:UNUSED_PAD src0_sel:WORD_1 src1_sel:DWORD
	v_fma_f16 v1, v1, v22, -v11
	v_mul_f16_sdwa v11, v2, v23 dst_sel:DWORD dst_unused:UNUSED_PAD src0_sel:WORD_1 src1_sel:DWORD
	s_waitcnt lgkmcnt(2)
	v_lshrrev_b32_e32 v25, 16, v13
	v_fma_f16 v11, v2, v12, v11
	v_mul_f16_sdwa v12, v2, v12 dst_sel:DWORD dst_unused:UNUSED_PAD src0_sel:WORD_1 src1_sel:DWORD
	v_fma_f16 v2, v2, v23, -v12
	v_mul_f16_sdwa v12, v3, v25 dst_sel:DWORD dst_unused:UNUSED_PAD src0_sel:WORD_1 src1_sel:DWORD
	v_lshrrev_b32_e32 v26, 16, v14
	v_fma_f16 v12, v3, v13, v12
	v_mul_f16_sdwa v13, v3, v13 dst_sel:DWORD dst_unused:UNUSED_PAD src0_sel:WORD_1 src1_sel:DWORD
	v_fma_f16 v3, v3, v25, -v13
	;; [unrolled: 11-line block ×3, first 2 shown]
	v_mul_f16_sdwa v15, v6, v28 dst_sel:DWORD dst_unused:UNUSED_PAD src0_sel:WORD_1 src1_sel:DWORD
	s_waitcnt lgkmcnt(0)
	v_lshrrev_b32_e32 v29, 16, v24
	v_fma_f16 v15, v6, v16, v15
	v_mul_f16_sdwa v16, v6, v16 dst_sel:DWORD dst_unused:UNUSED_PAD src0_sel:WORD_1 src1_sel:DWORD
	v_fma_f16 v6, v6, v28, -v16
	v_mul_f16_sdwa v16, v7, v29 dst_sel:DWORD dst_unused:UNUSED_PAD src0_sel:WORD_1 src1_sel:DWORD
	v_fma_f16 v16, v7, v24, v16
	v_mul_f16_sdwa v18, v7, v24 dst_sel:DWORD dst_unused:UNUSED_PAD src0_sel:WORD_1 src1_sel:DWORD
	v_fma_f16 v7, v7, v29, -v18
	v_add_f16_e32 v18, v30, v16
	v_sub_f16_e32 v16, v30, v16
	v_add_f16_e32 v22, v0, v7
	v_add_f16_e32 v24, v1, v6
	;; [unrolled: 1-line block ×4, first 2 shown]
	v_sub_f16_e32 v0, v0, v7
	v_sub_f16_e32 v7, v10, v15
	;; [unrolled: 1-line block ×5, first 2 shown]
	v_mul_f16_e32 v5, 0x3924, v16
	s_movk_i32 s0, 0x3be1
	v_sub_f16_e32 v11, v12, v13
	v_sub_f16_e32 v14, v3, v4
	v_add_f16_e32 v23, v10, v15
	v_mul_f16_e32 v10, 0x3924, v0
	v_fma_f16 v5, v7, s0, v5
	s_movk_i32 s1, 0x3aee
	v_mul_f16_e32 v30, 0xb924, v11
	v_mul_f16_e32 v31, 0xb924, v14
	v_fma_f16 v10, v1, s0, v10
	v_fma_f16 v5, v6, s1, v5
	s_movk_i32 s2, 0x3579
	v_fma_f16 v30, v16, s0, v30
	v_fma_f16 v31, v0, s0, v31
	s_mov_b32 s0, 0xbaee
	v_fma_f16 v10, v2, s1, v10
	v_fma_f16 v5, v11, s2, v5
	s_mov_b32 s14, 0xb924
	v_fma_f16 v30, v6, s0, v30
	v_add_f16_e32 v34, v11, v16
	v_mul_f16_e32 v11, 0x3be1, v11
	v_fma_f16 v10, v14, s2, v10
	v_fma_f16 v31, v2, s0, v31
	;; [unrolled: 1-line block ×3, first 2 shown]
	v_add_f16_e32 v35, v14, v0
	v_sub_f16_e32 v34, v34, v7
	v_mul_f16_e32 v14, 0x3be1, v14
	v_fma_f16 v7, v7, s14, -v11
	v_fma_f16 v31, v1, s2, v31
	v_sub_f16_e32 v35, v35, v1
	v_add_f16_e32 v41, v24, v22
	v_fma_f16 v1, v1, s14, -v14
	v_fma_f16 v6, v6, s1, v7
	v_lshrrev_b32_e32 v17, 16, v9
	s_movk_i32 s3, 0x3a21
	v_add_f16_e32 v28, v12, v13
	v_add_f16_e32 v29, v3, v4
	;; [unrolled: 1-line block ×3, first 2 shown]
	v_fma_f16 v1, v2, s1, v1
	v_fma_f16 v2, v16, s2, v6
	v_add_f16_e32 v6, v26, v41
	v_fma_f16 v15, v18, s3, v9
	v_fma_f16 v27, v22, s3, v17
	s_movk_i32 s4, 0x318f
	v_fma_f16 v32, v28, s3, v9
	v_fma_f16 v33, v29, s3, v17
	v_fma_f16 v0, v0, s2, v1
	v_add_f16_e32 v1, v25, v40
	v_add_f16_e32 v3, v3, v6
	v_fma_f16 v15, v23, s4, v15
	v_fma_f16 v27, v24, s4, v27
	v_fma_f16 v32, v18, s4, v32
	v_fma_f16 v33, v22, s4, v33
	v_add_f16_e32 v1, v12, v1
	v_add_f16_e32 v3, v4, v3
	v_fma_f16 v4, v23, s3, v9
	v_fma_f16 v6, v24, s3, v17
	v_fma_f16 v15, v25, -0.5, v15
	v_fma_f16 v27, v26, -0.5, v27
	s_mov_b32 s5, 0xbb84
	v_fma_f16 v32, v25, -0.5, v32
	v_fma_f16 v33, v26, -0.5, v33
	v_add_f16_e32 v1, v13, v1
	v_fma_f16 v4, v28, s4, v4
	v_fma_f16 v6, v29, s4, v6
	;; [unrolled: 1-line block ×6, first 2 shown]
	v_add_f16_e32 v38, v25, v9
	v_add_f16_e32 v39, v26, v17
	;; [unrolled: 1-line block ×6, first 2 shown]
	v_fma_f16 v4, v25, -0.5, v4
	v_fma_f16 v6, v26, -0.5, v6
	v_sub_f16_e32 v15, v15, v10
	v_add_f16_e32 v27, v5, v27
	v_sub_f16_e32 v32, v32, v31
	v_add_f16_e32 v33, v30, v33
	v_fma_f16 v38, v42, -0.5, v38
	v_fma_f16 v39, v43, -0.5, v39
	v_fma_f16 v4, v18, s5, v4
	v_fma_f16 v6, v22, s5, v6
	v_pack_b32_f16 v1, v1, v3
	v_mul_f16_e32 v36, 0x3aee, v34
	v_mul_f16_e32 v37, 0x3aee, v35
	v_fma_f16 v35, v35, s0, v38
	v_fma_f16 v34, v34, s1, v39
	v_sub_f16_e32 v4, v4, v0
	v_add_f16_e32 v6, v2, v6
	ds_write_b32 v21, v1
	v_pack_b32_f16 v1, v15, v27
	v_pack_b32_f16 v3, v32, v33
	v_fma_f16 v37, v37, 2.0, v35
	v_fma_f16 v36, v36, -2.0, v34
	v_fma_f16 v0, v0, 2.0, v4
	v_fma_f16 v2, v2, -2.0, v6
	ds_write2_b32 v21, v1, v3 offset0:22 offset1:44
	v_pack_b32_f16 v1, v35, v34
	v_pack_b32_f16 v3, v4, v6
	v_fma_f16 v10, v10, 2.0, v15
	v_fma_f16 v5, v5, -2.0, v27
	v_fma_f16 v31, v31, 2.0, v32
	v_fma_f16 v30, v30, -2.0, v33
	ds_write2_b32 v21, v1, v3 offset0:66 offset1:88
	v_pack_b32_f16 v0, v0, v2
	v_pack_b32_f16 v1, v37, v36
	ds_write2_b32 v21, v0, v1 offset0:110 offset1:132
	v_pack_b32_f16 v0, v31, v30
	v_pack_b32_f16 v1, v10, v5
	ds_write2_b32 v21, v0, v1 offset0:154 offset1:176
	s_waitcnt lgkmcnt(0)
	s_barrier
	s_and_b64 exec, exec, vcc
	s_cbranch_execz .LBB0_23
; %bb.22:
	global_load_dword v10, v19, s[6:7]
	global_load_dword v9, v19, s[6:7] offset:72
	ds_read_b32 v16, v21
	v_mad_u64_u32 v[2:3], s[0:1], s10, v8, 0
	v_mad_u64_u32 v[4:5], s[0:1], s8, v20, 0
	v_mov_b32_e32 v6, 0x7c00
	ds_read2_b32 v[0:1], v21 offset0:18 offset1:36
	v_mad_u64_u32 v[17:18], s[0:1], s11, v8, v[3:4]
	s_waitcnt lgkmcnt(1)
	v_lshrrev_b32_e32 v3, 16, v16
	v_mad_u64_u32 v[24:25], s[0:1], s9, v20, v[5:6]
	s_mov_b32 s14, 0xa052bf5b
	s_mov_b32 s15, 0x3f74afd6
	global_load_dword v11, v19, s[6:7] offset:144
	global_load_dword v12, v19, s[6:7] offset:216
	;; [unrolled: 1-line block ×6, first 2 shown]
	s_movk_i32 s18, 0x1ff
	s_movk_i32 s17, 0xffe
	v_mov_b32_e32 v5, v24
	s_movk_i32 s16, 0x40f
	s_mov_b32 s10, 0x8000
	s_waitcnt vmcnt(7)
	v_mul_f16_sdwa v8, v3, v10 dst_sel:DWORD dst_unused:UNUSED_PAD src0_sel:DWORD src1_sel:WORD_1
	v_fma_f16 v8, v16, v10, v8
	v_mul_f16_sdwa v16, v16, v10 dst_sel:DWORD dst_unused:UNUSED_PAD src0_sel:DWORD src1_sel:WORD_1
	v_cvt_f32_f16_e32 v8, v8
	v_fma_f16 v3, v10, v3, -v16
	v_cvt_f32_f16_e32 v3, v3
	v_cvt_f64_f32_e32 v[22:23], v8
	s_waitcnt lgkmcnt(0)
	v_lshrrev_b32_e32 v8, 16, v0
	v_cvt_f64_f32_e32 v[25:26], v3
	s_waitcnt vmcnt(6)
	v_mul_f16_sdwa v3, v8, v9 dst_sel:DWORD dst_unused:UNUSED_PAD src0_sel:DWORD src1_sel:WORD_1
	v_mul_f64 v[22:23], v[22:23], s[14:15]
	v_fma_f16 v3, v0, v9, v3
	v_mul_f64 v[25:26], v[25:26], s[14:15]
	v_cvt_f32_f16_e32 v10, v3
	v_mov_b32_e32 v3, v17
	v_lshlrev_b64 v[2:3], 2, v[2:3]
	v_mul_f16_sdwa v0, v0, v9 dst_sel:DWORD dst_unused:UNUSED_PAD src0_sel:DWORD src1_sel:WORD_1
	v_cvt_f64_f32_e32 v[16:17], v10
	v_and_or_b32 v10, v23, s18, v22
	v_lshrrev_b32_e32 v18, 8, v23
	v_bfe_u32 v20, v23, 20, 11
	v_lshrrev_b32_e32 v22, 16, v23
	v_and_or_b32 v23, v26, s18, v25
	v_cmp_ne_u32_e32 vcc, 0, v10
	v_cndmask_b32_e64 v10, 0, 1, vcc
	v_cmp_ne_u32_e32 vcc, 0, v23
	v_lshrrev_b32_e32 v24, 8, v26
	v_bfe_u32 v25, v26, 20, 11
	v_sub_u32_e32 v27, 0x3f1, v20
	v_cndmask_b32_e64 v23, 0, 1, vcc
	v_and_or_b32 v10, v18, s17, v10
	v_sub_u32_e32 v28, 0x3f1, v25
	v_med3_i32 v18, v27, 0, 13
	v_and_or_b32 v23, v24, s17, v23
	v_or_b32_e32 v27, 0x1000, v10
	v_add_u32_e32 v20, 0xfffffc10, v20
	v_med3_i32 v24, v28, 0, 13
	v_cmp_ne_u32_e32 vcc, 0, v10
	v_or_b32_e32 v29, 0x1000, v23
	v_lshrrev_b32_e32 v31, v18, v27
	v_add_u32_e32 v25, 0xfffffc10, v25
	v_lshl_or_b32 v28, v20, 12, v10
	v_cndmask_b32_e64 v10, 0, 1, vcc
	v_cmp_ne_u32_e32 vcc, 0, v23
	v_lshrrev_b32_e32 v32, v24, v29
	v_lshlrev_b32_e32 v18, v18, v31
	v_lshl_or_b32 v30, v25, 12, v23
	v_cndmask_b32_e64 v23, 0, 1, vcc
	v_lshlrev_b32_e32 v24, v24, v32
	v_cmp_ne_u32_e32 vcc, v18, v27
	v_cndmask_b32_e64 v18, 0, 1, vcc
	v_cmp_ne_u32_e32 vcc, v24, v29
	v_cndmask_b32_e64 v24, 0, 1, vcc
	v_or_b32_e32 v18, v31, v18
	v_cmp_gt_i32_e32 vcc, 1, v20
	v_cndmask_b32_e32 v18, v28, v18, vcc
	v_or_b32_e32 v24, v32, v24
	v_cmp_gt_i32_e32 vcc, 1, v25
	v_and_b32_e32 v27, 7, v18
	v_cndmask_b32_e32 v24, v30, v24, vcc
	v_cmp_lt_i32_e32 vcc, 5, v27
	v_cmp_eq_u32_e64 s[0:1], 3, v27
	v_lshrrev_b32_e32 v18, 2, v18
	v_and_b32_e32 v28, 7, v24
	s_or_b64 vcc, s[0:1], vcc
	v_cmp_lt_i32_e64 s[2:3], 5, v28
	v_cmp_eq_u32_e64 s[4:5], 3, v28
	v_addc_co_u32_e32 v18, vcc, 0, v18, vcc
	v_lshrrev_b32_e32 v24, 2, v24
	s_or_b64 vcc, s[4:5], s[2:3]
	v_addc_co_u32_e32 v24, vcc, 0, v24, vcc
	v_cmp_gt_i32_e32 vcc, 31, v20
	v_cndmask_b32_e32 v18, v6, v18, vcc
	v_cmp_gt_i32_e32 vcc, 31, v25
	v_lshl_or_b32 v10, v10, 9, v6
	v_cndmask_b32_e32 v24, v6, v24, vcc
	v_cmp_eq_u32_e32 vcc, s16, v20
	v_mul_f64 v[16:17], v[16:17], s[14:15]
	v_lshl_or_b32 v23, v23, 9, v6
	v_cndmask_b32_e32 v10, v18, v10, vcc
	v_cmp_eq_u32_e32 vcc, s16, v25
	v_lshrrev_b32_e32 v26, 16, v26
	v_cndmask_b32_e32 v18, v24, v23, vcc
	v_and_or_b32 v10, v22, s10, v10
	v_and_or_b32 v18, v26, s10, v18
	v_and_b32_e32 v10, 0xffff, v10
	v_lshl_or_b32 v10, v18, 16, v10
	v_mov_b32_e32 v18, s13
	v_add_co_u32_e32 v20, vcc, s12, v2
	v_addc_co_u32_e32 v18, vcc, v18, v3, vcc
	v_lshlrev_b64 v[2:3], 2, v[4:5]
	v_and_or_b32 v4, v17, s18, v16
	v_add_co_u32_e32 v2, vcc, v20, v2
	v_addc_co_u32_e32 v3, vcc, v18, v3, vcc
	v_cmp_ne_u32_e32 vcc, 0, v4
	v_cndmask_b32_e64 v4, 0, 1, vcc
	v_lshrrev_b32_e32 v5, 8, v17
	global_store_dword v[2:3], v10, off
	v_and_or_b32 v10, v5, s17, v4
	v_bfe_u32 v5, v17, 20, 11
	v_sub_u32_e32 v16, 0x3f1, v5
	v_or_b32_e32 v4, 0x1000, v10
	v_med3_i32 v16, v16, 0, 13
	v_lshrrev_b32_e32 v18, v16, v4
	v_lshlrev_b32_e32 v16, v16, v18
	v_cmp_ne_u32_e32 vcc, v16, v4
	v_fma_f16 v0, v9, v8, -v0
	v_cndmask_b32_e64 v4, 0, 1, vcc
	v_add_u32_e32 v16, 0xfffffc10, v5
	v_cvt_f32_f16_e32 v0, v0
	v_or_b32_e32 v4, v18, v4
	v_lshl_or_b32 v5, v16, 12, v10
	v_cmp_gt_i32_e32 vcc, 1, v16
	v_cndmask_b32_e32 v4, v5, v4, vcc
	v_and_b32_e32 v5, 7, v4
	v_cmp_lt_i32_e32 vcc, 5, v5
	v_cmp_eq_u32_e64 s[0:1], 3, v5
	v_lshrrev_b32_e32 v8, 2, v4
	v_cvt_f64_f32_e32 v[4:5], v0
	s_or_b64 vcc, s[0:1], vcc
	v_addc_co_u32_e32 v0, vcc, 0, v8, vcc
	v_mul_f64 v[4:5], v[4:5], s[14:15]
	v_cmp_gt_i32_e32 vcc, 31, v16
	v_cndmask_b32_e32 v0, v6, v0, vcc
	v_cmp_ne_u32_e32 vcc, 0, v10
	v_cndmask_b32_e64 v8, 0, 1, vcc
	v_lshl_or_b32 v8, v8, 9, v6
	v_cmp_eq_u32_e32 vcc, s16, v16
	v_cndmask_b32_e32 v0, v0, v8, vcc
	v_and_or_b32 v4, v5, s18, v4
	v_lshrrev_b32_e32 v8, 16, v17
	v_cmp_ne_u32_e32 vcc, 0, v4
	v_and_or_b32 v0, v8, s10, v0
	v_cndmask_b32_e64 v4, 0, 1, vcc
	v_lshrrev_b32_e32 v8, 8, v5
	v_bfe_u32 v9, v5, 20, 11
	v_and_or_b32 v4, v8, s17, v4
	v_sub_u32_e32 v10, 0x3f1, v9
	v_or_b32_e32 v8, 0x1000, v4
	v_med3_i32 v10, v10, 0, 13
	v_lshrrev_b32_e32 v16, v10, v8
	v_lshlrev_b32_e32 v10, v10, v16
	v_cmp_ne_u32_e32 vcc, v10, v8
	v_cndmask_b32_e64 v8, 0, 1, vcc
	v_add_u32_e32 v9, 0xfffffc10, v9
	v_or_b32_e32 v8, v16, v8
	v_lshl_or_b32 v10, v9, 12, v4
	v_cmp_gt_i32_e32 vcc, 1, v9
	v_cndmask_b32_e32 v8, v10, v8, vcc
	v_and_b32_e32 v10, 7, v8
	v_cmp_lt_i32_e32 vcc, 5, v10
	v_cmp_eq_u32_e64 s[0:1], 3, v10
	v_lshrrev_b32_e32 v8, 2, v8
	s_or_b64 vcc, s[0:1], vcc
	v_addc_co_u32_e32 v8, vcc, 0, v8, vcc
	v_cmp_gt_i32_e32 vcc, 31, v9
	v_cndmask_b32_e32 v8, v6, v8, vcc
	v_cmp_ne_u32_e32 vcc, 0, v4
	v_cndmask_b32_e64 v4, 0, 1, vcc
	v_lshl_or_b32 v4, v4, 9, v6
	v_cmp_eq_u32_e32 vcc, s16, v9
	v_cndmask_b32_e32 v4, v8, v4, vcc
	v_lshrrev_b32_e32 v8, 16, v1
	s_waitcnt vmcnt(6)
	v_mul_f16_sdwa v9, v8, v11 dst_sel:DWORD dst_unused:UNUSED_PAD src0_sel:DWORD src1_sel:WORD_1
	v_fma_f16 v9, v1, v11, v9
	v_cvt_f32_f16_e32 v9, v9
	v_lshrrev_b32_e32 v5, 16, v5
	v_and_or_b32 v4, v5, s10, v4
	v_and_b32_e32 v0, 0xffff, v0
	v_lshl_or_b32 v0, v4, 16, v0
	v_cvt_f64_f32_e32 v[4:5], v9
	s_mul_i32 s0, s9, 0x48
	s_mul_hi_u32 s2, s8, 0x48
	s_add_i32 s2, s2, s0
	v_mul_f64 v[4:5], v[4:5], s[14:15]
	s_mul_i32 s3, s8, 0x48
	v_mov_b32_e32 v9, s2
	v_add_co_u32_e32 v2, vcc, s3, v2
	v_addc_co_u32_e32 v3, vcc, v3, v9, vcc
	global_store_dword v[2:3], v0, off
	v_and_or_b32 v0, v5, s18, v4
	v_cmp_ne_u32_e32 vcc, 0, v0
	v_cndmask_b32_e64 v0, 0, 1, vcc
	v_lshrrev_b32_e32 v4, 8, v5
	v_bfe_u32 v9, v5, 20, 11
	v_and_or_b32 v4, v4, s17, v0
	v_sub_u32_e32 v10, 0x3f1, v9
	v_or_b32_e32 v0, 0x1000, v4
	v_med3_i32 v10, v10, 0, 13
	v_lshrrev_b32_e32 v16, v10, v0
	v_mul_f16_sdwa v1, v1, v11 dst_sel:DWORD dst_unused:UNUSED_PAD src0_sel:DWORD src1_sel:WORD_1
	v_lshlrev_b32_e32 v10, v10, v16
	v_fma_f16 v1, v11, v8, -v1
	v_cmp_ne_u32_e32 vcc, v10, v0
	v_cvt_f32_f16_e32 v1, v1
	v_cndmask_b32_e64 v0, 0, 1, vcc
	v_add_u32_e32 v9, 0xfffffc10, v9
	v_or_b32_e32 v0, v16, v0
	v_lshl_or_b32 v10, v9, 12, v4
	v_cmp_gt_i32_e32 vcc, 1, v9
	v_cndmask_b32_e32 v0, v10, v0, vcc
	v_and_b32_e32 v10, 7, v0
	v_lshrrev_b32_e32 v8, 2, v0
	v_cvt_f64_f32_e32 v[0:1], v1
	v_cmp_lt_i32_e32 vcc, 5, v10
	v_cmp_eq_u32_e64 s[0:1], 3, v10
	s_or_b64 vcc, s[0:1], vcc
	v_mul_f64 v[0:1], v[0:1], s[14:15]
	v_addc_co_u32_e32 v8, vcc, 0, v8, vcc
	v_cmp_gt_i32_e32 vcc, 31, v9
	v_cndmask_b32_e32 v8, v6, v8, vcc
	v_cmp_ne_u32_e32 vcc, 0, v4
	v_cndmask_b32_e64 v4, 0, 1, vcc
	v_lshl_or_b32 v4, v4, 9, v6
	v_cmp_eq_u32_e32 vcc, s16, v9
	v_and_or_b32 v0, v1, s18, v0
	v_cndmask_b32_e32 v4, v8, v4, vcc
	v_lshrrev_b32_e32 v5, 16, v5
	v_cmp_ne_u32_e32 vcc, 0, v0
	v_and_or_b32 v10, v5, s10, v4
	v_cndmask_b32_e64 v0, 0, 1, vcc
	v_lshrrev_b32_e32 v4, 8, v1
	v_bfe_u32 v5, v1, 20, 11
	v_and_or_b32 v0, v4, s17, v0
	v_sub_u32_e32 v8, 0x3f1, v5
	v_or_b32_e32 v4, 0x1000, v0
	v_med3_i32 v8, v8, 0, 13
	v_lshrrev_b32_e32 v9, v8, v4
	v_lshlrev_b32_e32 v8, v8, v9
	v_cmp_ne_u32_e32 vcc, v8, v4
	v_cndmask_b32_e64 v4, 0, 1, vcc
	v_add_u32_e32 v8, 0xfffffc10, v5
	v_or_b32_e32 v4, v9, v4
	v_lshl_or_b32 v5, v8, 12, v0
	v_cmp_gt_i32_e32 vcc, 1, v8
	v_cndmask_b32_e32 v4, v5, v4, vcc
	v_and_b32_e32 v5, 7, v4
	v_cmp_lt_i32_e32 vcc, 5, v5
	v_cmp_eq_u32_e64 s[0:1], 3, v5
	v_lshrrev_b32_e32 v4, 2, v4
	s_or_b64 vcc, s[0:1], vcc
	v_addc_co_u32_e32 v9, vcc, 0, v4, vcc
	ds_read2_b32 v[4:5], v21 offset0:54 offset1:72
	v_cmp_gt_i32_e32 vcc, 31, v8
	v_cndmask_b32_e32 v9, v6, v9, vcc
	v_cmp_ne_u32_e32 vcc, 0, v0
	v_cndmask_b32_e64 v0, 0, 1, vcc
	s_waitcnt lgkmcnt(0)
	v_lshrrev_b32_e32 v11, 16, v4
	s_waitcnt vmcnt(6)
	v_mul_f16_sdwa v16, v11, v12 dst_sel:DWORD dst_unused:UNUSED_PAD src0_sel:DWORD src1_sel:WORD_1
	v_fma_f16 v16, v4, v12, v16
	v_cvt_f32_f16_e32 v16, v16
	v_lshl_or_b32 v0, v0, 9, v6
	v_cmp_eq_u32_e32 vcc, s16, v8
	v_cndmask_b32_e32 v0, v9, v0, vcc
	v_cvt_f64_f32_e32 v[8:9], v16
	v_lshrrev_b32_e32 v1, 16, v1
	v_and_or_b32 v16, v1, s10, v0
	v_add_co_u32_e32 v2, vcc, s3, v2
	v_mul_f64 v[0:1], v[8:9], s[14:15]
	v_mov_b32_e32 v9, s2
	v_and_b32_e32 v10, 0xffff, v10
	v_addc_co_u32_e32 v3, vcc, v3, v9, vcc
	v_lshl_or_b32 v8, v16, 16, v10
	global_store_dword v[2:3], v8, off
	v_mul_f16_sdwa v4, v4, v12 dst_sel:DWORD dst_unused:UNUSED_PAD src0_sel:DWORD src1_sel:WORD_1
	v_and_or_b32 v0, v1, s18, v0
	v_cmp_ne_u32_e32 vcc, 0, v0
	v_cndmask_b32_e64 v0, 0, 1, vcc
	v_lshrrev_b32_e32 v8, 8, v1
	v_bfe_u32 v9, v1, 20, 11
	v_and_or_b32 v0, v8, s17, v0
	v_sub_u32_e32 v10, 0x3f1, v9
	v_or_b32_e32 v8, 0x1000, v0
	v_med3_i32 v10, v10, 0, 13
	v_lshrrev_b32_e32 v16, v10, v8
	v_lshlrev_b32_e32 v10, v10, v16
	v_cmp_ne_u32_e32 vcc, v10, v8
	v_fma_f16 v4, v12, v11, -v4
	v_cndmask_b32_e64 v8, 0, 1, vcc
	v_add_u32_e32 v10, 0xfffffc10, v9
	v_cvt_f32_f16_e32 v4, v4
	v_or_b32_e32 v8, v16, v8
	v_lshl_or_b32 v9, v10, 12, v0
	v_cmp_gt_i32_e32 vcc, 1, v10
	v_cndmask_b32_e32 v8, v9, v8, vcc
	v_and_b32_e32 v9, 7, v8
	v_cmp_lt_i32_e32 vcc, 5, v9
	v_cmp_eq_u32_e64 s[0:1], 3, v9
	v_lshrrev_b32_e32 v11, 2, v8
	v_cvt_f64_f32_e32 v[8:9], v4
	s_or_b64 vcc, s[0:1], vcc
	v_addc_co_u32_e32 v4, vcc, 0, v11, vcc
	v_mul_f64 v[8:9], v[8:9], s[14:15]
	v_cmp_gt_i32_e32 vcc, 31, v10
	v_cndmask_b32_e32 v4, v6, v4, vcc
	v_cmp_ne_u32_e32 vcc, 0, v0
	v_cndmask_b32_e64 v0, 0, 1, vcc
	v_lshl_or_b32 v0, v0, 9, v6
	v_cmp_eq_u32_e32 vcc, s16, v10
	v_cndmask_b32_e32 v0, v4, v0, vcc
	v_lshrrev_b32_e32 v1, 16, v1
	v_and_or_b32 v4, v1, s10, v0
	v_and_or_b32 v0, v9, s18, v8
	v_cmp_ne_u32_e32 vcc, 0, v0
	v_cndmask_b32_e64 v0, 0, 1, vcc
	v_lshrrev_b32_e32 v1, 8, v9
	v_bfe_u32 v8, v9, 20, 11
	v_and_or_b32 v0, v1, s17, v0
	v_sub_u32_e32 v10, 0x3f1, v8
	v_or_b32_e32 v1, 0x1000, v0
	v_med3_i32 v10, v10, 0, 13
	v_lshrrev_b32_e32 v11, v10, v1
	v_lshlrev_b32_e32 v10, v10, v11
	v_cmp_ne_u32_e32 vcc, v10, v1
	v_cndmask_b32_e64 v1, 0, 1, vcc
	v_add_u32_e32 v8, 0xfffffc10, v8
	v_or_b32_e32 v1, v11, v1
	v_lshl_or_b32 v10, v8, 12, v0
	v_cmp_gt_i32_e32 vcc, 1, v8
	v_cndmask_b32_e32 v1, v10, v1, vcc
	v_and_b32_e32 v10, 7, v1
	v_cmp_lt_i32_e32 vcc, 5, v10
	v_cmp_eq_u32_e64 s[0:1], 3, v10
	v_lshrrev_b32_e32 v10, 16, v5
	v_lshrrev_b32_e32 v1, 2, v1
	s_or_b64 vcc, s[0:1], vcc
	s_waitcnt vmcnt(6)
	v_mul_f16_sdwa v11, v10, v13 dst_sel:DWORD dst_unused:UNUSED_PAD src0_sel:DWORD src1_sel:WORD_1
	v_addc_co_u32_e32 v1, vcc, 0, v1, vcc
	v_fma_f16 v11, v5, v13, v11
	v_cmp_gt_i32_e32 vcc, 31, v8
	v_cvt_f32_f16_e32 v11, v11
	v_cndmask_b32_e32 v1, v6, v1, vcc
	v_cmp_ne_u32_e32 vcc, 0, v0
	v_cndmask_b32_e64 v0, 0, 1, vcc
	v_lshl_or_b32 v0, v0, 9, v6
	v_cmp_eq_u32_e32 vcc, s16, v8
	v_cndmask_b32_e32 v8, v1, v0, vcc
	v_cvt_f64_f32_e32 v[0:1], v11
	v_lshrrev_b32_e32 v9, 16, v9
	v_and_or_b32 v8, v9, s10, v8
	v_and_b32_e32 v4, 0xffff, v4
	v_mul_f64 v[0:1], v[0:1], s[14:15]
	v_lshl_or_b32 v4, v8, 16, v4
	v_mov_b32_e32 v8, s2
	v_add_co_u32_e32 v2, vcc, s3, v2
	v_addc_co_u32_e32 v3, vcc, v3, v8, vcc
	global_store_dword v[2:3], v4, off
	v_and_or_b32 v0, v1, s18, v0
	v_cmp_ne_u32_e32 vcc, 0, v0
	v_cndmask_b32_e64 v0, 0, 1, vcc
	v_lshrrev_b32_e32 v4, 8, v1
	v_bfe_u32 v8, v1, 20, 11
	v_and_or_b32 v0, v4, s17, v0
	v_sub_u32_e32 v9, 0x3f1, v8
	v_or_b32_e32 v4, 0x1000, v0
	v_med3_i32 v9, v9, 0, 13
	v_lshrrev_b32_e32 v11, v9, v4
	v_lshlrev_b32_e32 v9, v9, v11
	v_mul_f16_sdwa v5, v5, v13 dst_sel:DWORD dst_unused:UNUSED_PAD src0_sel:DWORD src1_sel:WORD_1
	v_cmp_ne_u32_e32 vcc, v9, v4
	v_fma_f16 v5, v13, v10, -v5
	v_cndmask_b32_e64 v4, 0, 1, vcc
	v_add_u32_e32 v8, 0xfffffc10, v8
	v_cvt_f32_f16_e32 v5, v5
	v_or_b32_e32 v4, v11, v4
	v_lshl_or_b32 v9, v8, 12, v0
	v_cmp_gt_i32_e32 vcc, 1, v8
	v_cndmask_b32_e32 v4, v9, v4, vcc
	v_and_b32_e32 v9, 7, v4
	v_cmp_lt_i32_e32 vcc, 5, v9
	v_cmp_eq_u32_e64 s[0:1], 3, v9
	v_lshrrev_b32_e32 v9, 2, v4
	v_cvt_f64_f32_e32 v[4:5], v5
	s_or_b64 vcc, s[0:1], vcc
	v_addc_co_u32_e32 v9, vcc, 0, v9, vcc
	v_mul_f64 v[4:5], v[4:5], s[14:15]
	v_cmp_gt_i32_e32 vcc, 31, v8
	v_cndmask_b32_e32 v9, v6, v9, vcc
	v_cmp_ne_u32_e32 vcc, 0, v0
	v_cndmask_b32_e64 v0, 0, 1, vcc
	v_lshl_or_b32 v0, v0, 9, v6
	v_cmp_eq_u32_e32 vcc, s16, v8
	v_cndmask_b32_e32 v0, v9, v0, vcc
	v_lshrrev_b32_e32 v1, 16, v1
	v_and_or_b32 v10, v1, s10, v0
	v_and_or_b32 v0, v5, s18, v4
	v_cmp_ne_u32_e32 vcc, 0, v0
	v_cndmask_b32_e64 v0, 0, 1, vcc
	v_lshrrev_b32_e32 v1, 8, v5
	v_and_or_b32 v4, v1, s17, v0
	v_bfe_u32 v1, v5, 20, 11
	v_sub_u32_e32 v8, 0x3f1, v1
	v_or_b32_e32 v0, 0x1000, v4
	v_med3_i32 v8, v8, 0, 13
	v_lshrrev_b32_e32 v9, v8, v0
	v_lshlrev_b32_e32 v8, v8, v9
	v_cmp_ne_u32_e32 vcc, v8, v0
	v_cndmask_b32_e64 v0, 0, 1, vcc
	v_add_u32_e32 v8, 0xfffffc10, v1
	v_or_b32_e32 v0, v9, v0
	v_lshl_or_b32 v1, v8, 12, v4
	v_cmp_gt_i32_e32 vcc, 1, v8
	v_cndmask_b32_e32 v0, v1, v0, vcc
	v_and_b32_e32 v1, 7, v0
	v_cmp_lt_i32_e32 vcc, 5, v1
	v_cmp_eq_u32_e64 s[0:1], 3, v1
	v_lshrrev_b32_e32 v0, 2, v0
	s_or_b64 vcc, s[0:1], vcc
	v_addc_co_u32_e32 v9, vcc, 0, v0, vcc
	ds_read2_b32 v[0:1], v21 offset0:90 offset1:108
	v_cmp_gt_i32_e32 vcc, 31, v8
	v_cndmask_b32_e32 v9, v6, v9, vcc
	v_cmp_ne_u32_e32 vcc, 0, v4
	v_cndmask_b32_e64 v4, 0, 1, vcc
	s_waitcnt lgkmcnt(0)
	v_lshrrev_b32_e32 v11, 16, v0
	s_waitcnt vmcnt(6)
	v_mul_f16_sdwa v12, v11, v14 dst_sel:DWORD dst_unused:UNUSED_PAD src0_sel:DWORD src1_sel:WORD_1
	v_fma_f16 v12, v0, v14, v12
	v_cvt_f32_f16_e32 v12, v12
	v_lshl_or_b32 v4, v4, 9, v6
	v_cmp_eq_u32_e32 vcc, s16, v8
	v_cndmask_b32_e32 v4, v9, v4, vcc
	v_cvt_f64_f32_e32 v[8:9], v12
	v_lshrrev_b32_e32 v5, 16, v5
	v_and_or_b32 v12, v5, s10, v4
	v_add_co_u32_e32 v2, vcc, s3, v2
	v_mul_f64 v[4:5], v[8:9], s[14:15]
	v_mov_b32_e32 v9, s2
	v_and_b32_e32 v10, 0xffff, v10
	v_addc_co_u32_e32 v3, vcc, v3, v9, vcc
	v_lshl_or_b32 v8, v12, 16, v10
	global_store_dword v[2:3], v8, off
	v_mul_f16_sdwa v0, v0, v14 dst_sel:DWORD dst_unused:UNUSED_PAD src0_sel:DWORD src1_sel:WORD_1
	v_and_or_b32 v4, v5, s18, v4
	v_cmp_ne_u32_e32 vcc, 0, v4
	v_cndmask_b32_e64 v4, 0, 1, vcc
	v_lshrrev_b32_e32 v8, 8, v5
	v_bfe_u32 v9, v5, 20, 11
	v_and_or_b32 v4, v8, s17, v4
	v_sub_u32_e32 v10, 0x3f1, v9
	v_or_b32_e32 v8, 0x1000, v4
	v_med3_i32 v10, v10, 0, 13
	v_lshrrev_b32_e32 v12, v10, v8
	v_lshlrev_b32_e32 v10, v10, v12
	v_cmp_ne_u32_e32 vcc, v10, v8
	v_fma_f16 v0, v14, v11, -v0
	v_cndmask_b32_e64 v8, 0, 1, vcc
	v_add_u32_e32 v10, 0xfffffc10, v9
	v_cvt_f32_f16_e32 v0, v0
	v_or_b32_e32 v8, v12, v8
	v_lshl_or_b32 v9, v10, 12, v4
	v_cmp_gt_i32_e32 vcc, 1, v10
	v_cndmask_b32_e32 v8, v9, v8, vcc
	v_and_b32_e32 v9, 7, v8
	v_cmp_lt_i32_e32 vcc, 5, v9
	v_cmp_eq_u32_e64 s[0:1], 3, v9
	v_lshrrev_b32_e32 v11, 2, v8
	v_cvt_f64_f32_e32 v[8:9], v0
	s_or_b64 vcc, s[0:1], vcc
	v_addc_co_u32_e32 v0, vcc, 0, v11, vcc
	v_mul_f64 v[8:9], v[8:9], s[14:15]
	v_cmp_gt_i32_e32 vcc, 31, v10
	v_cndmask_b32_e32 v0, v6, v0, vcc
	v_cmp_ne_u32_e32 vcc, 0, v4
	v_cndmask_b32_e64 v4, 0, 1, vcc
	v_lshl_or_b32 v4, v4, 9, v6
	v_cmp_eq_u32_e32 vcc, s16, v10
	v_cndmask_b32_e32 v0, v0, v4, vcc
	v_lshrrev_b32_e32 v4, 16, v5
	v_and_or_b32 v0, v4, s10, v0
	v_and_or_b32 v4, v9, s18, v8
	v_cmp_ne_u32_e32 vcc, 0, v4
	v_cndmask_b32_e64 v4, 0, 1, vcc
	v_lshrrev_b32_e32 v5, 8, v9
	v_bfe_u32 v8, v9, 20, 11
	v_and_or_b32 v4, v5, s17, v4
	v_sub_u32_e32 v10, 0x3f1, v8
	v_or_b32_e32 v5, 0x1000, v4
	v_med3_i32 v10, v10, 0, 13
	v_lshrrev_b32_e32 v11, v10, v5
	v_lshlrev_b32_e32 v10, v10, v11
	v_cmp_ne_u32_e32 vcc, v10, v5
	v_cndmask_b32_e64 v5, 0, 1, vcc
	v_add_u32_e32 v8, 0xfffffc10, v8
	v_or_b32_e32 v5, v11, v5
	v_lshl_or_b32 v10, v8, 12, v4
	v_cmp_gt_i32_e32 vcc, 1, v8
	v_cndmask_b32_e32 v5, v10, v5, vcc
	v_and_b32_e32 v10, 7, v5
	v_cmp_lt_i32_e32 vcc, 5, v10
	v_cmp_eq_u32_e64 s[0:1], 3, v10
	v_lshrrev_b32_e32 v10, 16, v1
	v_lshrrev_b32_e32 v5, 2, v5
	s_or_b64 vcc, s[0:1], vcc
	s_waitcnt vmcnt(6)
	v_mul_f16_sdwa v11, v10, v15 dst_sel:DWORD dst_unused:UNUSED_PAD src0_sel:DWORD src1_sel:WORD_1
	v_addc_co_u32_e32 v5, vcc, 0, v5, vcc
	v_fma_f16 v11, v1, v15, v11
	v_cmp_gt_i32_e32 vcc, 31, v8
	v_cvt_f32_f16_e32 v11, v11
	v_cndmask_b32_e32 v5, v6, v5, vcc
	v_cmp_ne_u32_e32 vcc, 0, v4
	v_cndmask_b32_e64 v4, 0, 1, vcc
	v_lshl_or_b32 v4, v4, 9, v6
	v_cmp_eq_u32_e32 vcc, s16, v8
	v_cndmask_b32_e32 v8, v5, v4, vcc
	v_cvt_f64_f32_e32 v[4:5], v11
	v_lshrrev_b32_e32 v9, 16, v9
	v_and_or_b32 v8, v9, s10, v8
	v_and_b32_e32 v0, 0xffff, v0
	v_mul_f64 v[4:5], v[4:5], s[14:15]
	v_lshl_or_b32 v0, v8, 16, v0
	v_mov_b32_e32 v8, s2
	v_add_co_u32_e32 v2, vcc, s3, v2
	v_addc_co_u32_e32 v3, vcc, v3, v8, vcc
	global_store_dword v[2:3], v0, off
	v_and_or_b32 v0, v5, s18, v4
	v_cmp_ne_u32_e32 vcc, 0, v0
	v_cndmask_b32_e64 v0, 0, 1, vcc
	v_lshrrev_b32_e32 v4, 8, v5
	v_bfe_u32 v8, v5, 20, 11
	v_and_or_b32 v4, v4, s17, v0
	v_sub_u32_e32 v9, 0x3f1, v8
	v_or_b32_e32 v0, 0x1000, v4
	v_med3_i32 v9, v9, 0, 13
	v_lshrrev_b32_e32 v11, v9, v0
	v_lshlrev_b32_e32 v9, v9, v11
	v_mul_f16_sdwa v1, v1, v15 dst_sel:DWORD dst_unused:UNUSED_PAD src0_sel:DWORD src1_sel:WORD_1
	v_cmp_ne_u32_e32 vcc, v9, v0
	v_fma_f16 v1, v15, v10, -v1
	v_cndmask_b32_e64 v0, 0, 1, vcc
	v_add_u32_e32 v8, 0xfffffc10, v8
	v_cvt_f32_f16_e32 v1, v1
	v_or_b32_e32 v0, v11, v0
	v_lshl_or_b32 v9, v8, 12, v4
	v_cmp_gt_i32_e32 vcc, 1, v8
	v_cndmask_b32_e32 v0, v9, v0, vcc
	v_and_b32_e32 v9, 7, v0
	v_cmp_lt_i32_e32 vcc, 5, v9
	v_cmp_eq_u32_e64 s[0:1], 3, v9
	v_lshrrev_b32_e32 v9, 2, v0
	v_cvt_f64_f32_e32 v[0:1], v1
	s_or_b64 vcc, s[0:1], vcc
	v_addc_co_u32_e32 v9, vcc, 0, v9, vcc
	v_mul_f64 v[0:1], v[0:1], s[14:15]
	v_cmp_gt_i32_e32 vcc, 31, v8
	v_cndmask_b32_e32 v9, v6, v9, vcc
	v_cmp_ne_u32_e32 vcc, 0, v4
	v_cndmask_b32_e64 v4, 0, 1, vcc
	v_lshl_or_b32 v4, v4, 9, v6
	v_cmp_eq_u32_e32 vcc, s16, v8
	v_cndmask_b32_e32 v4, v9, v4, vcc
	v_and_or_b32 v0, v1, s18, v0
	v_lshrrev_b32_e32 v5, 16, v5
	v_cmp_ne_u32_e32 vcc, 0, v0
	v_and_or_b32 v8, v5, s10, v4
	v_cndmask_b32_e64 v0, 0, 1, vcc
	v_lshrrev_b32_e32 v4, 8, v1
	v_bfe_u32 v5, v1, 20, 11
	v_and_or_b32 v0, v4, s17, v0
	v_sub_u32_e32 v9, 0x3f1, v5
	v_or_b32_e32 v4, 0x1000, v0
	v_med3_i32 v9, v9, 0, 13
	v_lshrrev_b32_e32 v10, v9, v4
	v_lshlrev_b32_e32 v9, v9, v10
	v_cmp_ne_u32_e32 vcc, v9, v4
	v_cndmask_b32_e64 v4, 0, 1, vcc
	v_add_u32_e32 v9, 0xfffffc10, v5
	v_or_b32_e32 v4, v10, v4
	v_lshl_or_b32 v5, v9, 12, v0
	v_cmp_gt_i32_e32 vcc, 1, v9
	v_cndmask_b32_e32 v4, v5, v4, vcc
	v_and_b32_e32 v5, 7, v4
	v_cmp_lt_i32_e32 vcc, 5, v5
	v_cmp_eq_u32_e64 s[0:1], 3, v5
	v_lshrrev_b32_e32 v4, 2, v4
	s_or_b64 vcc, s[0:1], vcc
	v_addc_co_u32_e32 v10, vcc, 0, v4, vcc
	v_cmp_gt_i32_e32 vcc, 31, v9
	v_cndmask_b32_e32 v10, v6, v10, vcc
	v_cmp_ne_u32_e32 vcc, 0, v0
	v_cndmask_b32_e64 v0, 0, 1, vcc
	v_lshl_or_b32 v0, v0, 9, v6
	v_cmp_eq_u32_e32 vcc, s16, v9
	v_cndmask_b32_e32 v9, v10, v0, vcc
	v_lshrrev_b32_e32 v10, 16, v1
	v_and_or_b32 v9, v10, s10, v9
	global_load_dword v10, v19, s[6:7] offset:576
	ds_read2_b32 v[4:5], v21 offset0:126 offset1:144
	v_and_b32_e32 v8, 0xffff, v8
	v_lshl_or_b32 v8, v9, 16, v8
	v_mov_b32_e32 v9, s2
	v_add_co_u32_e32 v2, vcc, s3, v2
	s_waitcnt lgkmcnt(0)
	v_lshrrev_b32_e32 v11, 16, v4
	s_waitcnt vmcnt(7)
	v_mul_f16_sdwa v12, v11, v7 dst_sel:DWORD dst_unused:UNUSED_PAD src0_sel:DWORD src1_sel:WORD_1
	v_fma_f16 v12, v4, v7, v12
	v_cvt_f32_f16_e32 v12, v12
	v_addc_co_u32_e32 v3, vcc, v3, v9, vcc
	global_store_dword v[2:3], v8, off
	v_cvt_f64_f32_e32 v[0:1], v12
	v_mul_f16_sdwa v4, v4, v7 dst_sel:DWORD dst_unused:UNUSED_PAD src0_sel:DWORD src1_sel:WORD_1
	v_fma_f16 v4, v7, v11, -v4
	v_cvt_f32_f16_e32 v4, v4
	v_mul_f64 v[0:1], v[0:1], s[14:15]
	v_and_or_b32 v0, v1, s18, v0
	v_cmp_ne_u32_e32 vcc, 0, v0
	v_cndmask_b32_e64 v0, 0, 1, vcc
	v_lshrrev_b32_e32 v8, 8, v1
	v_bfe_u32 v9, v1, 20, 11
	v_and_or_b32 v0, v8, s17, v0
	v_sub_u32_e32 v12, 0x3f1, v9
	v_or_b32_e32 v8, 0x1000, v0
	v_med3_i32 v12, v12, 0, 13
	v_lshrrev_b32_e32 v13, v12, v8
	v_lshlrev_b32_e32 v12, v12, v13
	v_cmp_ne_u32_e32 vcc, v12, v8
	v_cndmask_b32_e64 v8, 0, 1, vcc
	v_add_u32_e32 v9, 0xfffffc10, v9
	v_or_b32_e32 v8, v13, v8
	v_lshl_or_b32 v12, v9, 12, v0
	v_cmp_gt_i32_e32 vcc, 1, v9
	v_cndmask_b32_e32 v8, v12, v8, vcc
	v_and_b32_e32 v12, 7, v8
	v_lshrrev_b32_e32 v11, 2, v8
	v_cvt_f64_f32_e32 v[7:8], v4
	v_cmp_lt_i32_e32 vcc, 5, v12
	v_cmp_eq_u32_e64 s[0:1], 3, v12
	s_or_b64 vcc, s[0:1], vcc
	v_mul_f64 v[7:8], v[7:8], s[14:15]
	v_addc_co_u32_e32 v4, vcc, 0, v11, vcc
	v_cmp_gt_i32_e32 vcc, 31, v9
	v_cndmask_b32_e32 v4, v6, v4, vcc
	v_cmp_ne_u32_e32 vcc, 0, v0
	v_cndmask_b32_e64 v0, 0, 1, vcc
	v_lshl_or_b32 v0, v0, 9, v6
	v_cmp_eq_u32_e32 vcc, s16, v9
	v_cndmask_b32_e32 v0, v4, v0, vcc
	v_lshrrev_b32_e32 v1, 16, v1
	v_and_or_b32 v4, v1, s10, v0
	v_and_or_b32 v0, v8, s18, v7
	v_cmp_ne_u32_e32 vcc, 0, v0
	v_cndmask_b32_e64 v0, 0, 1, vcc
	v_lshrrev_b32_e32 v1, 8, v8
	v_bfe_u32 v7, v8, 20, 11
	v_and_or_b32 v0, v1, s17, v0
	v_sub_u32_e32 v9, 0x3f1, v7
	v_or_b32_e32 v1, 0x1000, v0
	v_med3_i32 v9, v9, 0, 13
	v_lshrrev_b32_e32 v11, v9, v1
	v_lshlrev_b32_e32 v9, v9, v11
	v_cmp_ne_u32_e32 vcc, v9, v1
	v_cndmask_b32_e64 v1, 0, 1, vcc
	v_or_b32_e32 v1, v11, v1
	global_load_dword v11, v19, s[6:7] offset:648
	global_load_dword v12, v19, s[6:7] offset:720
	v_add_u32_e32 v7, 0xfffffc10, v7
	v_lshl_or_b32 v9, v7, 12, v0
	v_cmp_gt_i32_e32 vcc, 1, v7
	v_cndmask_b32_e32 v1, v9, v1, vcc
	v_and_b32_e32 v9, 7, v1
	v_cmp_lt_i32_e32 vcc, 5, v9
	v_cmp_eq_u32_e64 s[0:1], 3, v9
	v_lshrrev_b32_e32 v9, 16, v5
	v_lshrrev_b32_e32 v1, 2, v1
	s_or_b64 vcc, s[0:1], vcc
	s_waitcnt vmcnt(3)
	v_mul_f16_sdwa v13, v9, v10 dst_sel:DWORD dst_unused:UNUSED_PAD src0_sel:DWORD src1_sel:WORD_1
	v_addc_co_u32_e32 v1, vcc, 0, v1, vcc
	v_fma_f16 v13, v5, v10, v13
	v_cmp_gt_i32_e32 vcc, 31, v7
	v_cvt_f32_f16_e32 v13, v13
	v_cndmask_b32_e32 v1, v6, v1, vcc
	v_cmp_ne_u32_e32 vcc, 0, v0
	v_cndmask_b32_e64 v0, 0, 1, vcc
	v_lshl_or_b32 v0, v0, 9, v6
	v_cmp_eq_u32_e32 vcc, s16, v7
	v_cndmask_b32_e32 v7, v1, v0, vcc
	v_cvt_f64_f32_e32 v[0:1], v13
	v_lshrrev_b32_e32 v8, 16, v8
	v_and_or_b32 v7, v8, s10, v7
	v_and_b32_e32 v4, 0xffff, v4
	v_mul_f64 v[0:1], v[0:1], s[14:15]
	v_lshl_or_b32 v4, v7, 16, v4
	v_mov_b32_e32 v7, s2
	v_add_co_u32_e32 v2, vcc, s3, v2
	v_addc_co_u32_e32 v3, vcc, v3, v7, vcc
	global_store_dword v[2:3], v4, off
	v_and_or_b32 v0, v1, s18, v0
	v_cmp_ne_u32_e32 vcc, 0, v0
	v_cndmask_b32_e64 v0, 0, 1, vcc
	v_lshrrev_b32_e32 v4, 8, v1
	v_bfe_u32 v7, v1, 20, 11
	v_and_or_b32 v0, v4, s17, v0
	v_sub_u32_e32 v8, 0x3f1, v7
	v_or_b32_e32 v4, 0x1000, v0
	v_med3_i32 v8, v8, 0, 13
	v_lshrrev_b32_e32 v13, v8, v4
	v_lshlrev_b32_e32 v8, v8, v13
	v_mul_f16_sdwa v5, v5, v10 dst_sel:DWORD dst_unused:UNUSED_PAD src0_sel:DWORD src1_sel:WORD_1
	v_cmp_ne_u32_e32 vcc, v8, v4
	v_fma_f16 v5, v10, v9, -v5
	v_cndmask_b32_e64 v4, 0, 1, vcc
	v_add_u32_e32 v7, 0xfffffc10, v7
	v_cvt_f32_f16_e32 v5, v5
	v_or_b32_e32 v4, v13, v4
	v_lshl_or_b32 v8, v7, 12, v0
	v_cmp_gt_i32_e32 vcc, 1, v7
	v_cndmask_b32_e32 v4, v8, v4, vcc
	v_and_b32_e32 v8, 7, v4
	v_cmp_lt_i32_e32 vcc, 5, v8
	v_cmp_eq_u32_e64 s[0:1], 3, v8
	v_lshrrev_b32_e32 v8, 2, v4
	v_cvt_f64_f32_e32 v[4:5], v5
	s_or_b64 vcc, s[0:1], vcc
	v_addc_co_u32_e32 v8, vcc, 0, v8, vcc
	v_mul_f64 v[4:5], v[4:5], s[14:15]
	v_cmp_gt_i32_e32 vcc, 31, v7
	v_cndmask_b32_e32 v8, v6, v8, vcc
	v_cmp_ne_u32_e32 vcc, 0, v0
	v_cndmask_b32_e64 v0, 0, 1, vcc
	v_lshl_or_b32 v0, v0, 9, v6
	v_cmp_eq_u32_e32 vcc, s16, v7
	v_cndmask_b32_e32 v0, v8, v0, vcc
	v_lshrrev_b32_e32 v1, 16, v1
	v_and_or_b32 v9, v1, s10, v0
	v_and_or_b32 v0, v5, s18, v4
	v_cmp_ne_u32_e32 vcc, 0, v0
	v_cndmask_b32_e64 v0, 0, 1, vcc
	v_lshrrev_b32_e32 v1, 8, v5
	v_and_or_b32 v4, v1, s17, v0
	v_bfe_u32 v1, v5, 20, 11
	v_sub_u32_e32 v7, 0x3f1, v1
	v_or_b32_e32 v0, 0x1000, v4
	v_med3_i32 v7, v7, 0, 13
	v_lshrrev_b32_e32 v8, v7, v0
	v_lshlrev_b32_e32 v7, v7, v8
	v_cmp_ne_u32_e32 vcc, v7, v0
	v_cndmask_b32_e64 v0, 0, 1, vcc
	v_add_u32_e32 v7, 0xfffffc10, v1
	v_or_b32_e32 v0, v8, v0
	v_lshl_or_b32 v1, v7, 12, v4
	v_cmp_gt_i32_e32 vcc, 1, v7
	v_cndmask_b32_e32 v0, v1, v0, vcc
	v_and_b32_e32 v1, 7, v0
	v_cmp_lt_i32_e32 vcc, 5, v1
	v_cmp_eq_u32_e64 s[0:1], 3, v1
	v_lshrrev_b32_e32 v0, 2, v0
	s_or_b64 vcc, s[0:1], vcc
	v_addc_co_u32_e32 v8, vcc, 0, v0, vcc
	ds_read2_b32 v[0:1], v21 offset0:162 offset1:180
	v_cmp_gt_i32_e32 vcc, 31, v7
	v_cndmask_b32_e32 v8, v6, v8, vcc
	v_cmp_ne_u32_e32 vcc, 0, v4
	v_cndmask_b32_e64 v4, 0, 1, vcc
	s_waitcnt lgkmcnt(0)
	v_lshrrev_b32_e32 v10, 16, v0
	s_waitcnt vmcnt(2)
	v_mul_f16_sdwa v13, v10, v11 dst_sel:DWORD dst_unused:UNUSED_PAD src0_sel:DWORD src1_sel:WORD_1
	v_fma_f16 v13, v0, v11, v13
	v_cvt_f32_f16_e32 v13, v13
	v_lshl_or_b32 v4, v4, 9, v6
	v_cmp_eq_u32_e32 vcc, s16, v7
	v_cndmask_b32_e32 v4, v8, v4, vcc
	v_cvt_f64_f32_e32 v[7:8], v13
	v_lshrrev_b32_e32 v5, 16, v5
	v_and_or_b32 v13, v5, s10, v4
	v_add_co_u32_e32 v2, vcc, s3, v2
	v_mul_f64 v[4:5], v[7:8], s[14:15]
	v_mov_b32_e32 v8, s2
	v_and_b32_e32 v9, 0xffff, v9
	v_addc_co_u32_e32 v3, vcc, v3, v8, vcc
	v_lshl_or_b32 v7, v13, 16, v9
	global_store_dword v[2:3], v7, off
	v_mul_f16_sdwa v0, v0, v11 dst_sel:DWORD dst_unused:UNUSED_PAD src0_sel:DWORD src1_sel:WORD_1
	v_and_or_b32 v4, v5, s18, v4
	v_cmp_ne_u32_e32 vcc, 0, v4
	v_cndmask_b32_e64 v4, 0, 1, vcc
	v_lshrrev_b32_e32 v7, 8, v5
	v_bfe_u32 v8, v5, 20, 11
	v_and_or_b32 v4, v7, s17, v4
	v_sub_u32_e32 v9, 0x3f1, v8
	v_or_b32_e32 v7, 0x1000, v4
	v_med3_i32 v9, v9, 0, 13
	v_lshrrev_b32_e32 v13, v9, v7
	v_lshlrev_b32_e32 v9, v9, v13
	v_cmp_ne_u32_e32 vcc, v9, v7
	v_fma_f16 v0, v11, v10, -v0
	v_cndmask_b32_e64 v7, 0, 1, vcc
	v_add_u32_e32 v9, 0xfffffc10, v8
	v_cvt_f32_f16_e32 v0, v0
	v_or_b32_e32 v7, v13, v7
	v_lshl_or_b32 v8, v9, 12, v4
	v_cmp_gt_i32_e32 vcc, 1, v9
	v_cndmask_b32_e32 v7, v8, v7, vcc
	v_and_b32_e32 v8, 7, v7
	v_cmp_lt_i32_e32 vcc, 5, v8
	v_cmp_eq_u32_e64 s[0:1], 3, v8
	v_lshrrev_b32_e32 v10, 2, v7
	v_cvt_f64_f32_e32 v[7:8], v0
	s_or_b64 vcc, s[0:1], vcc
	v_addc_co_u32_e32 v0, vcc, 0, v10, vcc
	v_mul_f64 v[7:8], v[7:8], s[14:15]
	v_cmp_gt_i32_e32 vcc, 31, v9
	v_cndmask_b32_e32 v0, v6, v0, vcc
	v_cmp_ne_u32_e32 vcc, 0, v4
	v_cndmask_b32_e64 v4, 0, 1, vcc
	v_lshl_or_b32 v4, v4, 9, v6
	v_cmp_eq_u32_e32 vcc, s16, v9
	v_cndmask_b32_e32 v0, v0, v4, vcc
	v_lshrrev_b32_e32 v4, 16, v5
	v_and_or_b32 v0, v4, s10, v0
	v_and_or_b32 v4, v8, s18, v7
	v_cmp_ne_u32_e32 vcc, 0, v4
	v_cndmask_b32_e64 v4, 0, 1, vcc
	v_lshrrev_b32_e32 v5, 8, v8
	v_bfe_u32 v7, v8, 20, 11
	v_and_or_b32 v4, v5, s17, v4
	v_sub_u32_e32 v9, 0x3f1, v7
	v_or_b32_e32 v5, 0x1000, v4
	v_med3_i32 v9, v9, 0, 13
	v_lshrrev_b32_e32 v10, v9, v5
	v_lshlrev_b32_e32 v9, v9, v10
	v_cmp_ne_u32_e32 vcc, v9, v5
	v_cndmask_b32_e64 v5, 0, 1, vcc
	v_add_u32_e32 v7, 0xfffffc10, v7
	v_or_b32_e32 v5, v10, v5
	v_lshl_or_b32 v9, v7, 12, v4
	v_cmp_gt_i32_e32 vcc, 1, v7
	v_cndmask_b32_e32 v5, v9, v5, vcc
	v_and_b32_e32 v9, 7, v5
	v_cmp_lt_i32_e32 vcc, 5, v9
	v_cmp_eq_u32_e64 s[0:1], 3, v9
	v_lshrrev_b32_e32 v9, 16, v1
	v_lshrrev_b32_e32 v5, 2, v5
	s_or_b64 vcc, s[0:1], vcc
	s_waitcnt vmcnt(2)
	v_mul_f16_sdwa v10, v9, v12 dst_sel:DWORD dst_unused:UNUSED_PAD src0_sel:DWORD src1_sel:WORD_1
	v_addc_co_u32_e32 v5, vcc, 0, v5, vcc
	v_fma_f16 v10, v1, v12, v10
	v_cmp_gt_i32_e32 vcc, 31, v7
	v_cvt_f32_f16_e32 v10, v10
	v_cndmask_b32_e32 v5, v6, v5, vcc
	v_cmp_ne_u32_e32 vcc, 0, v4
	v_cndmask_b32_e64 v4, 0, 1, vcc
	v_lshl_or_b32 v4, v4, 9, v6
	v_cmp_eq_u32_e32 vcc, s16, v7
	v_cndmask_b32_e32 v7, v5, v4, vcc
	v_cvt_f64_f32_e32 v[4:5], v10
	v_lshrrev_b32_e32 v8, 16, v8
	v_and_or_b32 v7, v8, s10, v7
	v_and_b32_e32 v0, 0xffff, v0
	v_mul_f64 v[4:5], v[4:5], s[14:15]
	v_lshl_or_b32 v0, v7, 16, v0
	v_mov_b32_e32 v7, s2
	v_add_co_u32_e32 v2, vcc, s3, v2
	v_addc_co_u32_e32 v3, vcc, v3, v7, vcc
	global_store_dword v[2:3], v0, off
	v_and_or_b32 v0, v5, s18, v4
	v_cmp_ne_u32_e32 vcc, 0, v0
	v_cndmask_b32_e64 v0, 0, 1, vcc
	v_lshrrev_b32_e32 v4, 8, v5
	v_bfe_u32 v7, v5, 20, 11
	v_and_or_b32 v4, v4, s17, v0
	v_sub_u32_e32 v8, 0x3f1, v7
	v_or_b32_e32 v0, 0x1000, v4
	v_med3_i32 v8, v8, 0, 13
	v_lshrrev_b32_e32 v10, v8, v0
	v_lshlrev_b32_e32 v8, v8, v10
	v_mul_f16_sdwa v1, v1, v12 dst_sel:DWORD dst_unused:UNUSED_PAD src0_sel:DWORD src1_sel:WORD_1
	v_cmp_ne_u32_e32 vcc, v8, v0
	v_fma_f16 v1, v12, v9, -v1
	v_cndmask_b32_e64 v0, 0, 1, vcc
	v_add_u32_e32 v7, 0xfffffc10, v7
	v_cvt_f32_f16_e32 v1, v1
	v_or_b32_e32 v0, v10, v0
	v_lshl_or_b32 v8, v7, 12, v4
	v_cmp_gt_i32_e32 vcc, 1, v7
	v_cndmask_b32_e32 v0, v8, v0, vcc
	v_and_b32_e32 v8, 7, v0
	v_cmp_lt_i32_e32 vcc, 5, v8
	v_cmp_eq_u32_e64 s[0:1], 3, v8
	v_lshrrev_b32_e32 v8, 2, v0
	v_cvt_f64_f32_e32 v[0:1], v1
	s_or_b64 vcc, s[0:1], vcc
	v_addc_co_u32_e32 v8, vcc, 0, v8, vcc
	v_mul_f64 v[0:1], v[0:1], s[14:15]
	v_cmp_gt_i32_e32 vcc, 31, v7
	v_cndmask_b32_e32 v8, v6, v8, vcc
	v_cmp_ne_u32_e32 vcc, 0, v4
	v_cndmask_b32_e64 v4, 0, 1, vcc
	v_lshl_or_b32 v4, v4, 9, v6
	v_cmp_eq_u32_e32 vcc, s16, v7
	v_cndmask_b32_e32 v4, v8, v4, vcc
	v_and_or_b32 v0, v1, s18, v0
	v_lshrrev_b32_e32 v5, 16, v5
	v_cmp_ne_u32_e32 vcc, 0, v0
	v_and_or_b32 v4, v5, s10, v4
	v_cndmask_b32_e64 v0, 0, 1, vcc
	v_lshrrev_b32_e32 v5, 8, v1
	v_bfe_u32 v7, v1, 20, 11
	v_and_or_b32 v0, v5, s17, v0
	v_sub_u32_e32 v8, 0x3f1, v7
	v_or_b32_e32 v5, 0x1000, v0
	v_med3_i32 v8, v8, 0, 13
	v_lshrrev_b32_e32 v9, v8, v5
	v_lshlrev_b32_e32 v8, v8, v9
	v_cmp_ne_u32_e32 vcc, v8, v5
	v_cndmask_b32_e64 v5, 0, 1, vcc
	v_add_u32_e32 v7, 0xfffffc10, v7
	v_or_b32_e32 v5, v9, v5
	v_lshl_or_b32 v8, v7, 12, v0
	v_cmp_gt_i32_e32 vcc, 1, v7
	v_cndmask_b32_e32 v5, v8, v5, vcc
	v_and_b32_e32 v8, 7, v5
	v_cmp_lt_i32_e32 vcc, 5, v8
	v_cmp_eq_u32_e64 s[0:1], 3, v8
	v_lshrrev_b32_e32 v5, 2, v5
	s_or_b64 vcc, s[0:1], vcc
	v_addc_co_u32_e32 v5, vcc, 0, v5, vcc
	v_cmp_gt_i32_e32 vcc, 31, v7
	v_cndmask_b32_e32 v5, v6, v5, vcc
	v_cmp_ne_u32_e32 vcc, 0, v0
	v_cndmask_b32_e64 v0, 0, 1, vcc
	v_lshl_or_b32 v0, v0, 9, v6
	v_cmp_eq_u32_e32 vcc, s16, v7
	v_cndmask_b32_e32 v0, v5, v0, vcc
	v_lshrrev_b32_e32 v1, 16, v1
	v_and_or_b32 v0, v1, s10, v0
	v_and_b32_e32 v1, 0xffff, v4
	v_lshl_or_b32 v4, v0, 16, v1
	v_mov_b32_e32 v1, s2
	v_add_co_u32_e32 v0, vcc, s3, v2
	v_addc_co_u32_e32 v1, vcc, v3, v1, vcc
	global_store_dword v[0:1], v4, off
.LBB0_23:
	s_endpgm
	.section	.rodata,"a",@progbits
	.p2align	6, 0x0
	.amdhsa_kernel bluestein_single_fwd_len198_dim1_half_op_CI_CI
		.amdhsa_group_segment_fixed_size 3960
		.amdhsa_private_segment_fixed_size 0
		.amdhsa_kernarg_size 104
		.amdhsa_user_sgpr_count 6
		.amdhsa_user_sgpr_private_segment_buffer 1
		.amdhsa_user_sgpr_dispatch_ptr 0
		.amdhsa_user_sgpr_queue_ptr 0
		.amdhsa_user_sgpr_kernarg_segment_ptr 1
		.amdhsa_user_sgpr_dispatch_id 0
		.amdhsa_user_sgpr_flat_scratch_init 0
		.amdhsa_user_sgpr_private_segment_size 0
		.amdhsa_uses_dynamic_stack 0
		.amdhsa_system_sgpr_private_segment_wavefront_offset 0
		.amdhsa_system_sgpr_workgroup_id_x 1
		.amdhsa_system_sgpr_workgroup_id_y 0
		.amdhsa_system_sgpr_workgroup_id_z 0
		.amdhsa_system_sgpr_workgroup_info 0
		.amdhsa_system_vgpr_workitem_id 0
		.amdhsa_next_free_vgpr 136
		.amdhsa_next_free_sgpr 26
		.amdhsa_reserve_vcc 1
		.amdhsa_reserve_flat_scratch 0
		.amdhsa_float_round_mode_32 0
		.amdhsa_float_round_mode_16_64 0
		.amdhsa_float_denorm_mode_32 3
		.amdhsa_float_denorm_mode_16_64 3
		.amdhsa_dx10_clamp 1
		.amdhsa_ieee_mode 1
		.amdhsa_fp16_overflow 0
		.amdhsa_exception_fp_ieee_invalid_op 0
		.amdhsa_exception_fp_denorm_src 0
		.amdhsa_exception_fp_ieee_div_zero 0
		.amdhsa_exception_fp_ieee_overflow 0
		.amdhsa_exception_fp_ieee_underflow 0
		.amdhsa_exception_fp_ieee_inexact 0
		.amdhsa_exception_int_div_zero 0
	.end_amdhsa_kernel
	.text
.Lfunc_end0:
	.size	bluestein_single_fwd_len198_dim1_half_op_CI_CI, .Lfunc_end0-bluestein_single_fwd_len198_dim1_half_op_CI_CI
                                        ; -- End function
	.section	.AMDGPU.csdata,"",@progbits
; Kernel info:
; codeLenInByte = 16032
; NumSgprs: 30
; NumVgprs: 136
; ScratchSize: 0
; MemoryBound: 0
; FloatMode: 240
; IeeeMode: 1
; LDSByteSize: 3960 bytes/workgroup (compile time only)
; SGPRBlocks: 3
; VGPRBlocks: 33
; NumSGPRsForWavesPerEU: 30
; NumVGPRsForWavesPerEU: 136
; Occupancy: 1
; WaveLimiterHint : 1
; COMPUTE_PGM_RSRC2:SCRATCH_EN: 0
; COMPUTE_PGM_RSRC2:USER_SGPR: 6
; COMPUTE_PGM_RSRC2:TRAP_HANDLER: 0
; COMPUTE_PGM_RSRC2:TGID_X_EN: 1
; COMPUTE_PGM_RSRC2:TGID_Y_EN: 0
; COMPUTE_PGM_RSRC2:TGID_Z_EN: 0
; COMPUTE_PGM_RSRC2:TIDIG_COMP_CNT: 0
	.type	__hip_cuid_2b5e19ff80ac4a5c,@object ; @__hip_cuid_2b5e19ff80ac4a5c
	.section	.bss,"aw",@nobits
	.globl	__hip_cuid_2b5e19ff80ac4a5c
__hip_cuid_2b5e19ff80ac4a5c:
	.byte	0                               ; 0x0
	.size	__hip_cuid_2b5e19ff80ac4a5c, 1

	.ident	"AMD clang version 19.0.0git (https://github.com/RadeonOpenCompute/llvm-project roc-6.4.0 25133 c7fe45cf4b819c5991fe208aaa96edf142730f1d)"
	.section	".note.GNU-stack","",@progbits
	.addrsig
	.addrsig_sym __hip_cuid_2b5e19ff80ac4a5c
	.amdgpu_metadata
---
amdhsa.kernels:
  - .args:
      - .actual_access:  read_only
        .address_space:  global
        .offset:         0
        .size:           8
        .value_kind:     global_buffer
      - .actual_access:  read_only
        .address_space:  global
        .offset:         8
        .size:           8
        .value_kind:     global_buffer
      - .actual_access:  read_only
        .address_space:  global
        .offset:         16
        .size:           8
        .value_kind:     global_buffer
      - .actual_access:  read_only
        .address_space:  global
        .offset:         24
        .size:           8
        .value_kind:     global_buffer
      - .actual_access:  read_only
        .address_space:  global
        .offset:         32
        .size:           8
        .value_kind:     global_buffer
      - .offset:         40
        .size:           8
        .value_kind:     by_value
      - .address_space:  global
        .offset:         48
        .size:           8
        .value_kind:     global_buffer
      - .address_space:  global
        .offset:         56
        .size:           8
        .value_kind:     global_buffer
      - .address_space:  global
        .offset:         64
        .size:           8
        .value_kind:     global_buffer
      - .address_space:  global
        .offset:         72
        .size:           8
        .value_kind:     global_buffer
      - .offset:         80
        .size:           4
        .value_kind:     by_value
      - .address_space:  global
        .offset:         88
        .size:           8
        .value_kind:     global_buffer
      - .address_space:  global
        .offset:         96
        .size:           8
        .value_kind:     global_buffer
    .group_segment_fixed_size: 3960
    .kernarg_segment_align: 8
    .kernarg_segment_size: 104
    .language:       OpenCL C
    .language_version:
      - 2
      - 0
    .max_flat_workgroup_size: 110
    .name:           bluestein_single_fwd_len198_dim1_half_op_CI_CI
    .private_segment_fixed_size: 0
    .sgpr_count:     30
    .sgpr_spill_count: 0
    .symbol:         bluestein_single_fwd_len198_dim1_half_op_CI_CI.kd
    .uniform_work_group_size: 1
    .uses_dynamic_stack: false
    .vgpr_count:     136
    .vgpr_spill_count: 0
    .wavefront_size: 64
amdhsa.target:   amdgcn-amd-amdhsa--gfx906
amdhsa.version:
  - 1
  - 2
...

	.end_amdgpu_metadata
